;; amdgpu-corpus repo=ROCm/rocSPARSE kind=compiled arch=gfx90a opt=O3
	.text
	.amdgcn_target "amdgcn-amd-amdhsa--gfx90a"
	.amdhsa_code_object_version 6
	.section	.text._ZN9rocsparseL12gemvi_kernelILj1024ELj32EifEEvT1_S1_NS_24const_host_device_scalarIT2_EEPKS3_lS1_S6_PKS1_S4_PS3_21rocsparse_index_base_b,"axG",@progbits,_ZN9rocsparseL12gemvi_kernelILj1024ELj32EifEEvT1_S1_NS_24const_host_device_scalarIT2_EEPKS3_lS1_S6_PKS1_S4_PS3_21rocsparse_index_base_b,comdat
	.globl	_ZN9rocsparseL12gemvi_kernelILj1024ELj32EifEEvT1_S1_NS_24const_host_device_scalarIT2_EEPKS3_lS1_S6_PKS1_S4_PS3_21rocsparse_index_base_b ; -- Begin function _ZN9rocsparseL12gemvi_kernelILj1024ELj32EifEEvT1_S1_NS_24const_host_device_scalarIT2_EEPKS3_lS1_S6_PKS1_S4_PS3_21rocsparse_index_base_b
	.p2align	8
	.type	_ZN9rocsparseL12gemvi_kernelILj1024ELj32EifEEvT1_S1_NS_24const_host_device_scalarIT2_EEPKS3_lS1_S6_PKS1_S4_PS3_21rocsparse_index_base_b,@function
_ZN9rocsparseL12gemvi_kernelILj1024ELj32EifEEvT1_S1_NS_24const_host_device_scalarIT2_EEPKS3_lS1_S6_PKS1_S4_PS3_21rocsparse_index_base_b: ; @_ZN9rocsparseL12gemvi_kernelILj1024ELj32EifEEvT1_S1_NS_24const_host_device_scalarIT2_EEPKS3_lS1_S6_PKS1_S4_PS3_21rocsparse_index_base_b
; %bb.0:
	s_load_dwordx2 s[16:17], s[4:5], 0x48
	s_load_dwordx2 s[12:13], s[4:5], 0x8
	;; [unrolled: 1-line block ×3, first 2 shown]
	s_waitcnt lgkmcnt(0)
	s_bitcmp1_b32 s17, 0
	s_cselect_b64 s[2:3], -1, 0
	s_xor_b64 s[0:1], s[2:3], -1
	s_and_b64 vcc, exec, s[2:3]
	s_cbranch_vccnz .LBB0_2
; %bb.1:
	s_load_dword s12, s[12:13], 0x0
.LBB0_2:
	s_andn2_b64 vcc, exec, s[0:1]
	s_cbranch_vccnz .LBB0_4
; %bb.3:
	s_load_dword s14, s[14:15], 0x0
.LBB0_4:
	s_waitcnt lgkmcnt(0)
	v_cmp_neq_f32_e64 s[0:1], s12, 0
	v_cmp_neq_f32_e64 s[2:3], s14, 1.0
	s_or_b64 s[0:1], s[0:1], s[2:3]
	s_andn2_b64 vcc, exec, s[0:1]
	s_cbranch_vccnz .LBB0_26
; %bb.5:
	s_load_dword s2, s[4:5], 0x0
	v_and_b32_e32 v1, 31, v0
	v_lshl_or_b32 v2, s6, 5, v1
	v_mov_b32_e32 v3, 0
	s_waitcnt lgkmcnt(0)
	v_cmp_le_i32_e64 s[0:1], s2, v2
	v_cmp_gt_i32_e32 vcc, s2, v2
	s_and_saveexec_b64 s[6:7], vcc
	s_cbranch_execz .LBB0_11
; %bb.6:
	s_load_dword s13, s[4:5], 0x20
	v_lshrrev_b32_e32 v8, 5, v0
	v_mov_b32_e32 v3, 0
	s_waitcnt lgkmcnt(0)
	v_cmp_gt_i32_e32 vcc, s13, v8
	s_and_saveexec_b64 s[18:19], vcc
	s_cbranch_execz .LBB0_10
; %bb.7:
	s_load_dwordx4 s[8:11], s[4:5], 0x10
	s_load_dwordx4 s[20:23], s[4:5], 0x28
	v_ashrrev_i32_e32 v3, 31, v2
	v_lshlrev_b64 v[4:5], 2, v[2:3]
	s_waitcnt lgkmcnt(0)
	v_mov_b32_e32 v3, s9
	v_add_co_u32_e32 v9, vcc, s8, v4
	v_addc_co_u32_e32 v10, vcc, v3, v5, vcc
	v_lshrrev_b32_e32 v3, 3, v0
	v_and_b32_e32 v6, 0x7c, v3
	v_mov_b32_e32 v5, s21
	v_add_co_u32_e32 v4, vcc, s20, v6
	v_addc_co_u32_e32 v5, vcc, 0, v5, vcc
	v_mov_b32_e32 v7, s23
	v_add_co_u32_e32 v6, vcc, s22, v6
	v_mov_b32_e32 v3, 0
	v_addc_co_u32_e32 v7, vcc, 0, v7, vcc
	s_mov_b64 s[8:9], 0
.LBB0_8:                                ; =>This Inner Loop Header: Depth=1
	global_load_dword v11, v[6:7], off
	global_load_dword v14, v[4:5], off
	v_add_u32_e32 v8, 32, v8
	s_waitcnt vmcnt(1)
	v_subrev_u32_e32 v11, s16, v11
	v_ashrrev_i32_e32 v15, 31, v11
	v_mul_lo_u32 v16, v11, s11
	v_mad_u64_u32 v[12:13], s[2:3], v11, s10, 0
	v_mul_lo_u32 v11, v15, s10
	v_add3_u32 v13, v13, v16, v11
	v_lshlrev_b64 v[12:13], 2, v[12:13]
	v_add_co_u32_e32 v12, vcc, v9, v12
	v_addc_co_u32_e32 v13, vcc, v10, v13, vcc
	global_load_dword v11, v[12:13], off
	v_add_co_u32_e32 v4, vcc, 0x80, v4
	v_addc_co_u32_e32 v5, vcc, 0, v5, vcc
	v_add_co_u32_e32 v6, vcc, 0x80, v6
	v_cmp_le_i32_e64 s[2:3], s13, v8
	v_addc_co_u32_e32 v7, vcc, 0, v7, vcc
	s_or_b64 s[8:9], s[2:3], s[8:9]
	s_waitcnt vmcnt(0)
	v_fmac_f32_e32 v3, v14, v11
	s_andn2_b64 exec, exec, s[8:9]
	s_cbranch_execnz .LBB0_8
; %bb.9:
	s_or_b64 exec, exec, s[8:9]
.LBB0_10:
	s_or_b64 exec, exec, s[18:19]
.LBB0_11:
	s_or_b64 exec, exec, s[6:7]
	s_movk_i32 s2, 0x200
	v_lshlrev_b32_e32 v4, 2, v0
	v_cmp_gt_u32_e32 vcc, s2, v0
	ds_write_b32 v4, v3
	s_waitcnt lgkmcnt(0)
	s_barrier
	s_and_saveexec_b64 s[2:3], vcc
	s_cbranch_execz .LBB0_13
; %bb.12:
	ds_read2st64_b32 v[6:7], v4 offset1:8
	s_waitcnt lgkmcnt(0)
	v_add_f32_e32 v3, v7, v6
	ds_write_b32 v4, v3
.LBB0_13:
	s_or_b64 exec, exec, s[2:3]
	s_movk_i32 s2, 0x100
	v_cmp_gt_u32_e32 vcc, s2, v0
	s_waitcnt lgkmcnt(0)
	s_barrier
	s_and_saveexec_b64 s[2:3], vcc
	s_cbranch_execz .LBB0_15
; %bb.14:
	ds_read2st64_b32 v[6:7], v4 offset1:4
	s_waitcnt lgkmcnt(0)
	v_add_f32_e32 v3, v7, v6
	ds_write_b32 v4, v3
.LBB0_15:
	s_or_b64 exec, exec, s[2:3]
	s_movk_i32 s2, 0x80
	v_cmp_gt_u32_e32 vcc, s2, v0
	s_waitcnt lgkmcnt(0)
	s_barrier
	s_and_saveexec_b64 s[2:3], vcc
	s_cbranch_execz .LBB0_17
; %bb.16:
	ds_read2st64_b32 v[6:7], v4 offset1:2
	s_waitcnt lgkmcnt(0)
	v_add_f32_e32 v3, v7, v6
	ds_write_b32 v4, v3
.LBB0_17:
	s_or_b64 exec, exec, s[2:3]
	v_cmp_gt_u32_e32 vcc, 64, v0
	s_waitcnt lgkmcnt(0)
	s_barrier
	s_and_saveexec_b64 s[2:3], vcc
	s_cbranch_execz .LBB0_19
; %bb.18:
	ds_read2st64_b32 v[6:7], v4 offset1:1
	s_waitcnt lgkmcnt(0)
	v_add_f32_e32 v3, v7, v6
	ds_write_b32 v4, v3
.LBB0_19:
	s_or_b64 exec, exec, s[2:3]
	v_cmp_lt_u32_e32 vcc, 31, v0
	v_cmp_gt_u32_e64 s[2:3], 32, v0
	s_waitcnt lgkmcnt(0)
	s_barrier
	s_and_saveexec_b64 s[6:7], s[2:3]
	s_cbranch_execz .LBB0_21
; %bb.20:
	ds_read2_b32 v[6:7], v4 offset1:32
	s_waitcnt lgkmcnt(0)
	v_add_f32_e32 v0, v7, v6
	ds_write_b32 v4, v0
.LBB0_21:
	s_or_b64 exec, exec, s[6:7]
	s_or_b64 s[0:1], vcc, s[0:1]
	s_mov_b64 s[2:3], -1
	s_xor_b64 s[0:1], s[0:1], -1
	s_and_saveexec_b64 s[6:7], s[0:1]
	s_cbranch_execz .LBB0_26
; %bb.22:
	v_lshlrev_b32_e32 v0, 2, v1
	s_load_dwordx2 s[0:1], s[4:5], 0x40
	ds_read_b32 v0, v0
	v_cmp_eq_f32_e64 s[4:5], s14, 0
	s_and_b64 vcc, exec, s[4:5]
	v_ashrrev_i32_e32 v3, 31, v2
	s_cbranch_vccz .LBB0_24
; %bb.23:
	v_lshlrev_b64 v[4:5], 2, v[2:3]
	s_waitcnt lgkmcnt(0)
	v_mov_b32_e32 v6, s1
	v_add_co_u32_e32 v4, vcc, s0, v4
	v_mul_f32_e32 v1, s12, v0
	v_addc_co_u32_e32 v5, vcc, v6, v5, vcc
	global_store_dword v[4:5], v1, off
	s_mov_b64 s[2:3], 0
.LBB0_24:
	s_andn2_b64 vcc, exec, s[2:3]
	s_cbranch_vccnz .LBB0_26
; %bb.25:
	v_lshlrev_b64 v[2:3], 2, v[2:3]
	s_waitcnt lgkmcnt(0)
	v_mov_b32_e32 v1, s1
	v_add_co_u32_e32 v2, vcc, s0, v2
	v_addc_co_u32_e32 v3, vcc, v1, v3, vcc
	global_load_dword v1, v[2:3], off
	s_waitcnt vmcnt(0)
	v_mul_f32_e32 v1, s14, v1
	v_fmac_f32_e32 v1, s12, v0
	global_store_dword v[2:3], v1, off
.LBB0_26:
	s_endpgm
	.section	.rodata,"a",@progbits
	.p2align	6, 0x0
	.amdhsa_kernel _ZN9rocsparseL12gemvi_kernelILj1024ELj32EifEEvT1_S1_NS_24const_host_device_scalarIT2_EEPKS3_lS1_S6_PKS1_S4_PS3_21rocsparse_index_base_b
		.amdhsa_group_segment_fixed_size 4096
		.amdhsa_private_segment_fixed_size 0
		.amdhsa_kernarg_size 80
		.amdhsa_user_sgpr_count 6
		.amdhsa_user_sgpr_private_segment_buffer 1
		.amdhsa_user_sgpr_dispatch_ptr 0
		.amdhsa_user_sgpr_queue_ptr 0
		.amdhsa_user_sgpr_kernarg_segment_ptr 1
		.amdhsa_user_sgpr_dispatch_id 0
		.amdhsa_user_sgpr_flat_scratch_init 0
		.amdhsa_user_sgpr_kernarg_preload_length 0
		.amdhsa_user_sgpr_kernarg_preload_offset 0
		.amdhsa_user_sgpr_private_segment_size 0
		.amdhsa_uses_dynamic_stack 0
		.amdhsa_system_sgpr_private_segment_wavefront_offset 0
		.amdhsa_system_sgpr_workgroup_id_x 1
		.amdhsa_system_sgpr_workgroup_id_y 0
		.amdhsa_system_sgpr_workgroup_id_z 0
		.amdhsa_system_sgpr_workgroup_info 0
		.amdhsa_system_vgpr_workitem_id 0
		.amdhsa_next_free_vgpr 17
		.amdhsa_next_free_sgpr 24
		.amdhsa_accum_offset 20
		.amdhsa_reserve_vcc 1
		.amdhsa_reserve_flat_scratch 0
		.amdhsa_float_round_mode_32 0
		.amdhsa_float_round_mode_16_64 0
		.amdhsa_float_denorm_mode_32 3
		.amdhsa_float_denorm_mode_16_64 3
		.amdhsa_dx10_clamp 1
		.amdhsa_ieee_mode 1
		.amdhsa_fp16_overflow 0
		.amdhsa_tg_split 0
		.amdhsa_exception_fp_ieee_invalid_op 0
		.amdhsa_exception_fp_denorm_src 0
		.amdhsa_exception_fp_ieee_div_zero 0
		.amdhsa_exception_fp_ieee_overflow 0
		.amdhsa_exception_fp_ieee_underflow 0
		.amdhsa_exception_fp_ieee_inexact 0
		.amdhsa_exception_int_div_zero 0
	.end_amdhsa_kernel
	.section	.text._ZN9rocsparseL12gemvi_kernelILj1024ELj32EifEEvT1_S1_NS_24const_host_device_scalarIT2_EEPKS3_lS1_S6_PKS1_S4_PS3_21rocsparse_index_base_b,"axG",@progbits,_ZN9rocsparseL12gemvi_kernelILj1024ELj32EifEEvT1_S1_NS_24const_host_device_scalarIT2_EEPKS3_lS1_S6_PKS1_S4_PS3_21rocsparse_index_base_b,comdat
.Lfunc_end0:
	.size	_ZN9rocsparseL12gemvi_kernelILj1024ELj32EifEEvT1_S1_NS_24const_host_device_scalarIT2_EEPKS3_lS1_S6_PKS1_S4_PS3_21rocsparse_index_base_b, .Lfunc_end0-_ZN9rocsparseL12gemvi_kernelILj1024ELj32EifEEvT1_S1_NS_24const_host_device_scalarIT2_EEPKS3_lS1_S6_PKS1_S4_PS3_21rocsparse_index_base_b
                                        ; -- End function
	.section	.AMDGPU.csdata,"",@progbits
; Kernel info:
; codeLenInByte = 860
; NumSgprs: 28
; NumVgprs: 17
; NumAgprs: 0
; TotalNumVgprs: 17
; ScratchSize: 0
; MemoryBound: 0
; FloatMode: 240
; IeeeMode: 1
; LDSByteSize: 4096 bytes/workgroup (compile time only)
; SGPRBlocks: 3
; VGPRBlocks: 2
; NumSGPRsForWavesPerEU: 28
; NumVGPRsForWavesPerEU: 17
; AccumOffset: 20
; Occupancy: 8
; WaveLimiterHint : 1
; COMPUTE_PGM_RSRC2:SCRATCH_EN: 0
; COMPUTE_PGM_RSRC2:USER_SGPR: 6
; COMPUTE_PGM_RSRC2:TRAP_HANDLER: 0
; COMPUTE_PGM_RSRC2:TGID_X_EN: 1
; COMPUTE_PGM_RSRC2:TGID_Y_EN: 0
; COMPUTE_PGM_RSRC2:TGID_Z_EN: 0
; COMPUTE_PGM_RSRC2:TIDIG_COMP_CNT: 0
; COMPUTE_PGM_RSRC3_GFX90A:ACCUM_OFFSET: 4
; COMPUTE_PGM_RSRC3_GFX90A:TG_SPLIT: 0
	.section	.text._ZN9rocsparseL12gemvi_kernelILj1024ELj64EifEEvT1_S1_NS_24const_host_device_scalarIT2_EEPKS3_lS1_S6_PKS1_S4_PS3_21rocsparse_index_base_b,"axG",@progbits,_ZN9rocsparseL12gemvi_kernelILj1024ELj64EifEEvT1_S1_NS_24const_host_device_scalarIT2_EEPKS3_lS1_S6_PKS1_S4_PS3_21rocsparse_index_base_b,comdat
	.globl	_ZN9rocsparseL12gemvi_kernelILj1024ELj64EifEEvT1_S1_NS_24const_host_device_scalarIT2_EEPKS3_lS1_S6_PKS1_S4_PS3_21rocsparse_index_base_b ; -- Begin function _ZN9rocsparseL12gemvi_kernelILj1024ELj64EifEEvT1_S1_NS_24const_host_device_scalarIT2_EEPKS3_lS1_S6_PKS1_S4_PS3_21rocsparse_index_base_b
	.p2align	8
	.type	_ZN9rocsparseL12gemvi_kernelILj1024ELj64EifEEvT1_S1_NS_24const_host_device_scalarIT2_EEPKS3_lS1_S6_PKS1_S4_PS3_21rocsparse_index_base_b,@function
_ZN9rocsparseL12gemvi_kernelILj1024ELj64EifEEvT1_S1_NS_24const_host_device_scalarIT2_EEPKS3_lS1_S6_PKS1_S4_PS3_21rocsparse_index_base_b: ; @_ZN9rocsparseL12gemvi_kernelILj1024ELj64EifEEvT1_S1_NS_24const_host_device_scalarIT2_EEPKS3_lS1_S6_PKS1_S4_PS3_21rocsparse_index_base_b
; %bb.0:
	s_load_dwordx2 s[12:13], s[4:5], 0x48
	s_load_dwordx2 s[8:9], s[4:5], 0x8
	;; [unrolled: 1-line block ×3, first 2 shown]
	s_waitcnt lgkmcnt(0)
	s_bitcmp1_b32 s13, 0
	s_cselect_b64 s[2:3], -1, 0
	s_xor_b64 s[0:1], s[2:3], -1
	s_and_b64 vcc, exec, s[2:3]
	s_cbranch_vccnz .LBB1_2
; %bb.1:
	s_load_dword s8, s[8:9], 0x0
.LBB1_2:
	s_andn2_b64 vcc, exec, s[0:1]
	s_cbranch_vccnz .LBB1_4
; %bb.3:
	s_load_dword s10, s[10:11], 0x0
.LBB1_4:
	s_waitcnt lgkmcnt(0)
	v_cmp_neq_f32_e64 s[0:1], s8, 0
	v_cmp_neq_f32_e64 s[2:3], s10, 1.0
	s_or_b64 s[0:1], s[0:1], s[2:3]
	s_andn2_b64 vcc, exec, s[0:1]
	s_cbranch_vccnz .LBB1_24
; %bb.5:
	s_load_dword s0, s[4:5], 0x0
	v_and_b32_e32 v1, 63, v0
	v_lshl_or_b32 v2, s6, 6, v1
	v_mov_b32_e32 v3, 0
	s_waitcnt lgkmcnt(0)
	v_cmp_le_i32_e32 vcc, s0, v2
	v_cmp_gt_i32_e64 s[0:1], s0, v2
	s_and_saveexec_b64 s[6:7], s[0:1]
	s_cbranch_execz .LBB1_11
; %bb.6:
	s_load_dword s9, s[4:5], 0x20
	v_lshrrev_b32_e32 v8, 6, v0
	v_mov_b32_e32 v3, 0
	s_waitcnt lgkmcnt(0)
	v_cmp_gt_i32_e64 s[0:1], s9, v8
	s_and_saveexec_b64 s[14:15], s[0:1]
	s_cbranch_execz .LBB1_10
; %bb.7:
	s_load_dwordx4 s[0:3], s[4:5], 0x10
	s_load_dwordx4 s[16:19], s[4:5], 0x28
	v_ashrrev_i32_e32 v3, 31, v2
	v_lshlrev_b64 v[4:5], 2, v[2:3]
	s_waitcnt lgkmcnt(0)
	v_mov_b32_e32 v3, s1
	v_add_co_u32_e64 v9, s[0:1], s0, v4
	v_addc_co_u32_e64 v10, s[0:1], v3, v5, s[0:1]
	v_lshrrev_b32_e32 v3, 4, v0
	v_and_b32_e32 v6, 60, v3
	v_mov_b32_e32 v5, s17
	v_add_co_u32_e64 v4, s[0:1], s16, v6
	v_addc_co_u32_e64 v5, s[0:1], 0, v5, s[0:1]
	v_mov_b32_e32 v7, s19
	v_add_co_u32_e64 v6, s[0:1], s18, v6
	v_mov_b32_e32 v3, 0
	v_addc_co_u32_e64 v7, s[0:1], 0, v7, s[0:1]
	s_mov_b64 s[16:17], 0
.LBB1_8:                                ; =>This Inner Loop Header: Depth=1
	global_load_dword v11, v[6:7], off
	global_load_dword v14, v[4:5], off
	v_add_u32_e32 v8, 16, v8
	s_waitcnt vmcnt(1)
	v_subrev_u32_e32 v11, s12, v11
	v_ashrrev_i32_e32 v15, 31, v11
	v_mul_lo_u32 v16, v11, s3
	v_mad_u64_u32 v[12:13], s[0:1], v11, s2, 0
	v_mul_lo_u32 v11, v15, s2
	v_add3_u32 v13, v13, v16, v11
	v_lshlrev_b64 v[12:13], 2, v[12:13]
	v_add_co_u32_e64 v12, s[0:1], v9, v12
	v_addc_co_u32_e64 v13, s[0:1], v10, v13, s[0:1]
	global_load_dword v11, v[12:13], off
	v_add_co_u32_e64 v4, s[0:1], 64, v4
	v_addc_co_u32_e64 v5, s[0:1], 0, v5, s[0:1]
	v_add_co_u32_e64 v6, s[0:1], 64, v6
	v_addc_co_u32_e64 v7, s[0:1], 0, v7, s[0:1]
	v_cmp_le_i32_e64 s[0:1], s9, v8
	s_or_b64 s[16:17], s[0:1], s[16:17]
	s_waitcnt vmcnt(0)
	v_fmac_f32_e32 v3, v14, v11
	s_andn2_b64 exec, exec, s[16:17]
	s_cbranch_execnz .LBB1_8
; %bb.9:
	s_or_b64 exec, exec, s[16:17]
.LBB1_10:
	s_or_b64 exec, exec, s[14:15]
.LBB1_11:
	s_or_b64 exec, exec, s[6:7]
	s_movk_i32 s0, 0x200
	v_lshlrev_b32_e32 v4, 2, v0
	v_cmp_gt_u32_e64 s[0:1], s0, v0
	ds_write_b32 v4, v3
	s_waitcnt lgkmcnt(0)
	s_barrier
	s_and_saveexec_b64 s[2:3], s[0:1]
	s_cbranch_execz .LBB1_13
; %bb.12:
	ds_read2st64_b32 v[6:7], v4 offset1:8
	s_waitcnt lgkmcnt(0)
	v_add_f32_e32 v3, v7, v6
	ds_write_b32 v4, v3
.LBB1_13:
	s_or_b64 exec, exec, s[2:3]
	s_movk_i32 s0, 0x100
	v_cmp_gt_u32_e64 s[0:1], s0, v0
	s_waitcnt lgkmcnt(0)
	s_barrier
	s_and_saveexec_b64 s[2:3], s[0:1]
	s_cbranch_execz .LBB1_15
; %bb.14:
	ds_read2st64_b32 v[6:7], v4 offset1:4
	s_waitcnt lgkmcnt(0)
	v_add_f32_e32 v3, v7, v6
	ds_write_b32 v4, v3
.LBB1_15:
	s_or_b64 exec, exec, s[2:3]
	s_movk_i32 s0, 0x80
	v_cmp_gt_u32_e64 s[0:1], s0, v0
	s_waitcnt lgkmcnt(0)
	s_barrier
	s_and_saveexec_b64 s[2:3], s[0:1]
	s_cbranch_execz .LBB1_17
; %bb.16:
	ds_read2st64_b32 v[6:7], v4 offset1:2
	s_waitcnt lgkmcnt(0)
	v_add_f32_e32 v3, v7, v6
	ds_write_b32 v4, v3
.LBB1_17:
	s_or_b64 exec, exec, s[2:3]
	v_cmp_lt_u32_e64 s[0:1], 63, v0
	v_cmp_gt_u32_e64 s[2:3], 64, v0
	s_waitcnt lgkmcnt(0)
	s_barrier
	s_and_saveexec_b64 s[6:7], s[2:3]
	s_cbranch_execz .LBB1_19
; %bb.18:
	ds_read2st64_b32 v[6:7], v4 offset1:1
	s_waitcnt lgkmcnt(0)
	v_add_f32_e32 v0, v7, v6
	ds_write_b32 v4, v0
.LBB1_19:
	s_or_b64 exec, exec, s[6:7]
	s_or_b64 s[0:1], s[0:1], vcc
	s_mov_b64 s[2:3], -1
	s_xor_b64 s[0:1], s[0:1], -1
	s_and_saveexec_b64 s[6:7], s[0:1]
	s_cbranch_execz .LBB1_24
; %bb.20:
	v_lshlrev_b32_e32 v0, 2, v1
	s_load_dwordx2 s[0:1], s[4:5], 0x40
	ds_read_b32 v0, v0
	v_cmp_eq_f32_e64 s[4:5], s10, 0
	s_and_b64 vcc, exec, s[4:5]
	v_ashrrev_i32_e32 v3, 31, v2
	s_cbranch_vccz .LBB1_22
; %bb.21:
	v_lshlrev_b64 v[4:5], 2, v[2:3]
	s_waitcnt lgkmcnt(0)
	v_mov_b32_e32 v6, s1
	v_add_co_u32_e32 v4, vcc, s0, v4
	v_mul_f32_e32 v1, s8, v0
	v_addc_co_u32_e32 v5, vcc, v6, v5, vcc
	global_store_dword v[4:5], v1, off
	s_mov_b64 s[2:3], 0
.LBB1_22:
	s_andn2_b64 vcc, exec, s[2:3]
	s_cbranch_vccnz .LBB1_24
; %bb.23:
	v_lshlrev_b64 v[2:3], 2, v[2:3]
	s_waitcnt lgkmcnt(0)
	v_mov_b32_e32 v1, s1
	v_add_co_u32_e32 v2, vcc, s0, v2
	v_addc_co_u32_e32 v3, vcc, v1, v3, vcc
	global_load_dword v1, v[2:3], off
	s_waitcnt vmcnt(0)
	v_mul_f32_e32 v1, s10, v1
	v_fmac_f32_e32 v1, s8, v0
	global_store_dword v[2:3], v1, off
.LBB1_24:
	s_endpgm
	.section	.rodata,"a",@progbits
	.p2align	6, 0x0
	.amdhsa_kernel _ZN9rocsparseL12gemvi_kernelILj1024ELj64EifEEvT1_S1_NS_24const_host_device_scalarIT2_EEPKS3_lS1_S6_PKS1_S4_PS3_21rocsparse_index_base_b
		.amdhsa_group_segment_fixed_size 4096
		.amdhsa_private_segment_fixed_size 0
		.amdhsa_kernarg_size 80
		.amdhsa_user_sgpr_count 6
		.amdhsa_user_sgpr_private_segment_buffer 1
		.amdhsa_user_sgpr_dispatch_ptr 0
		.amdhsa_user_sgpr_queue_ptr 0
		.amdhsa_user_sgpr_kernarg_segment_ptr 1
		.amdhsa_user_sgpr_dispatch_id 0
		.amdhsa_user_sgpr_flat_scratch_init 0
		.amdhsa_user_sgpr_kernarg_preload_length 0
		.amdhsa_user_sgpr_kernarg_preload_offset 0
		.amdhsa_user_sgpr_private_segment_size 0
		.amdhsa_uses_dynamic_stack 0
		.amdhsa_system_sgpr_private_segment_wavefront_offset 0
		.amdhsa_system_sgpr_workgroup_id_x 1
		.amdhsa_system_sgpr_workgroup_id_y 0
		.amdhsa_system_sgpr_workgroup_id_z 0
		.amdhsa_system_sgpr_workgroup_info 0
		.amdhsa_system_vgpr_workitem_id 0
		.amdhsa_next_free_vgpr 17
		.amdhsa_next_free_sgpr 20
		.amdhsa_accum_offset 20
		.amdhsa_reserve_vcc 1
		.amdhsa_reserve_flat_scratch 0
		.amdhsa_float_round_mode_32 0
		.amdhsa_float_round_mode_16_64 0
		.amdhsa_float_denorm_mode_32 3
		.amdhsa_float_denorm_mode_16_64 3
		.amdhsa_dx10_clamp 1
		.amdhsa_ieee_mode 1
		.amdhsa_fp16_overflow 0
		.amdhsa_tg_split 0
		.amdhsa_exception_fp_ieee_invalid_op 0
		.amdhsa_exception_fp_denorm_src 0
		.amdhsa_exception_fp_ieee_div_zero 0
		.amdhsa_exception_fp_ieee_overflow 0
		.amdhsa_exception_fp_ieee_underflow 0
		.amdhsa_exception_fp_ieee_inexact 0
		.amdhsa_exception_int_div_zero 0
	.end_amdhsa_kernel
	.section	.text._ZN9rocsparseL12gemvi_kernelILj1024ELj64EifEEvT1_S1_NS_24const_host_device_scalarIT2_EEPKS3_lS1_S6_PKS1_S4_PS3_21rocsparse_index_base_b,"axG",@progbits,_ZN9rocsparseL12gemvi_kernelILj1024ELj64EifEEvT1_S1_NS_24const_host_device_scalarIT2_EEPKS3_lS1_S6_PKS1_S4_PS3_21rocsparse_index_base_b,comdat
.Lfunc_end1:
	.size	_ZN9rocsparseL12gemvi_kernelILj1024ELj64EifEEvT1_S1_NS_24const_host_device_scalarIT2_EEPKS3_lS1_S6_PKS1_S4_PS3_21rocsparse_index_base_b, .Lfunc_end1-_ZN9rocsparseL12gemvi_kernelILj1024ELj64EifEEvT1_S1_NS_24const_host_device_scalarIT2_EEPKS3_lS1_S6_PKS1_S4_PS3_21rocsparse_index_base_b
                                        ; -- End function
	.section	.AMDGPU.csdata,"",@progbits
; Kernel info:
; codeLenInByte = 868
; NumSgprs: 24
; NumVgprs: 17
; NumAgprs: 0
; TotalNumVgprs: 17
; ScratchSize: 0
; MemoryBound: 0
; FloatMode: 240
; IeeeMode: 1
; LDSByteSize: 4096 bytes/workgroup (compile time only)
; SGPRBlocks: 2
; VGPRBlocks: 2
; NumSGPRsForWavesPerEU: 24
; NumVGPRsForWavesPerEU: 17
; AccumOffset: 20
; Occupancy: 8
; WaveLimiterHint : 1
; COMPUTE_PGM_RSRC2:SCRATCH_EN: 0
; COMPUTE_PGM_RSRC2:USER_SGPR: 6
; COMPUTE_PGM_RSRC2:TRAP_HANDLER: 0
; COMPUTE_PGM_RSRC2:TGID_X_EN: 1
; COMPUTE_PGM_RSRC2:TGID_Y_EN: 0
; COMPUTE_PGM_RSRC2:TGID_Z_EN: 0
; COMPUTE_PGM_RSRC2:TIDIG_COMP_CNT: 0
; COMPUTE_PGM_RSRC3_GFX90A:ACCUM_OFFSET: 4
; COMPUTE_PGM_RSRC3_GFX90A:TG_SPLIT: 0
	.section	.text._ZN9rocsparseL12gemvi_kernelILj1024ELj32EidEEvT1_S1_NS_24const_host_device_scalarIT2_EEPKS3_lS1_S6_PKS1_S4_PS3_21rocsparse_index_base_b,"axG",@progbits,_ZN9rocsparseL12gemvi_kernelILj1024ELj32EidEEvT1_S1_NS_24const_host_device_scalarIT2_EEPKS3_lS1_S6_PKS1_S4_PS3_21rocsparse_index_base_b,comdat
	.globl	_ZN9rocsparseL12gemvi_kernelILj1024ELj32EidEEvT1_S1_NS_24const_host_device_scalarIT2_EEPKS3_lS1_S6_PKS1_S4_PS3_21rocsparse_index_base_b ; -- Begin function _ZN9rocsparseL12gemvi_kernelILj1024ELj32EidEEvT1_S1_NS_24const_host_device_scalarIT2_EEPKS3_lS1_S6_PKS1_S4_PS3_21rocsparse_index_base_b
	.p2align	8
	.type	_ZN9rocsparseL12gemvi_kernelILj1024ELj32EidEEvT1_S1_NS_24const_host_device_scalarIT2_EEPKS3_lS1_S6_PKS1_S4_PS3_21rocsparse_index_base_b,@function
_ZN9rocsparseL12gemvi_kernelILj1024ELj32EidEEvT1_S1_NS_24const_host_device_scalarIT2_EEPKS3_lS1_S6_PKS1_S4_PS3_21rocsparse_index_base_b: ; @_ZN9rocsparseL12gemvi_kernelILj1024ELj32EidEEvT1_S1_NS_24const_host_device_scalarIT2_EEPKS3_lS1_S6_PKS1_S4_PS3_21rocsparse_index_base_b
; %bb.0:
	s_load_dwordx2 s[12:13], s[4:5], 0x48
	s_load_dwordx2 s[8:9], s[4:5], 0x8
	;; [unrolled: 1-line block ×3, first 2 shown]
	s_waitcnt lgkmcnt(0)
	s_bitcmp1_b32 s13, 0
	s_cselect_b64 s[10:11], -1, 0
	s_xor_b64 s[2:3], s[10:11], -1
	s_and_b64 vcc, exec, s[10:11]
	v_pk_mov_b32 v[2:3], s[8:9], s[8:9] op_sel:[0,1]
	s_cbranch_vccnz .LBB2_2
; %bb.1:
	v_pk_mov_b32 v[2:3], s[8:9], s[8:9] op_sel:[0,1]
	flat_load_dwordx2 v[2:3], v[2:3]
.LBB2_2:
	s_andn2_b64 vcc, exec, s[2:3]
	v_pk_mov_b32 v[4:5], s[0:1], s[0:1] op_sel:[0,1]
	s_cbranch_vccnz .LBB2_4
; %bb.3:
	v_pk_mov_b32 v[4:5], s[0:1], s[0:1] op_sel:[0,1]
	flat_load_dwordx2 v[4:5], v[4:5]
.LBB2_4:
	s_waitcnt vmcnt(0) lgkmcnt(0)
	v_cmp_neq_f64_e32 vcc, 0, v[2:3]
	v_cmp_neq_f64_e64 s[0:1], 1.0, v[4:5]
	s_or_b64 s[0:1], vcc, s[0:1]
	s_and_saveexec_b64 s[2:3], s[0:1]
	s_cbranch_execz .LBB2_26
; %bb.5:
	s_load_dword s2, s[4:5], 0x0
	v_and_b32_e32 v1, 31, v0
	v_lshl_or_b32 v6, s6, 5, v1
	v_pk_mov_b32 v[8:9], 0, 0
	s_waitcnt lgkmcnt(0)
	v_cmp_le_i32_e64 s[0:1], s2, v6
	v_cmp_gt_i32_e32 vcc, s2, v6
	s_and_saveexec_b64 s[6:7], vcc
	s_cbranch_execz .LBB2_11
; %bb.6:
	s_load_dword s13, s[4:5], 0x20
	v_lshrrev_b32_e32 v14, 5, v0
	v_pk_mov_b32 v[8:9], 0, 0
	s_waitcnt lgkmcnt(0)
	v_cmp_gt_i32_e32 vcc, s13, v14
	s_and_saveexec_b64 s[14:15], vcc
	s_cbranch_execz .LBB2_10
; %bb.7:
	s_load_dwordx4 s[8:11], s[4:5], 0x10
	s_load_dwordx4 s[16:19], s[4:5], 0x28
	v_ashrrev_i32_e32 v7, 31, v6
	v_lshlrev_b64 v[8:9], 3, v[6:7]
	s_waitcnt lgkmcnt(0)
	v_mov_b32_e32 v10, s9
	v_add_co_u32_e32 v7, vcc, s8, v8
	v_lshrrev_b32_e32 v8, 5, v0
	v_addc_co_u32_e32 v15, vcc, v10, v9, vcc
	v_lshlrev_b32_e32 v9, 3, v8
	v_mov_b32_e32 v11, s17
	v_add_co_u32_e32 v10, vcc, s16, v9
	v_addc_co_u32_e32 v11, vcc, 0, v11, vcc
	v_lshlrev_b32_e32 v8, 2, v8
	v_mov_b32_e32 v9, s19
	v_add_co_u32_e32 v12, vcc, s18, v8
	v_addc_co_u32_e32 v13, vcc, 0, v9, vcc
	s_mov_b64 s[8:9], 0
	v_pk_mov_b32 v[8:9], 0, 0
.LBB2_8:                                ; =>This Inner Loop Header: Depth=1
	global_load_dword v18, v[12:13], off
	global_load_dwordx2 v[16:17], v[10:11], off
	v_add_u32_e32 v14, 32, v14
	s_waitcnt vmcnt(1)
	v_subrev_u32_e32 v18, s12, v18
	v_ashrrev_i32_e32 v20, 31, v18
	v_mul_lo_u32 v21, v18, s11
	v_mad_u64_u32 v[18:19], s[2:3], v18, s10, 0
	v_mul_lo_u32 v20, v20, s10
	v_add3_u32 v19, v19, v21, v20
	v_lshlrev_b64 v[18:19], 3, v[18:19]
	v_add_co_u32_e32 v18, vcc, v7, v18
	v_addc_co_u32_e32 v19, vcc, v15, v19, vcc
	global_load_dwordx2 v[18:19], v[18:19], off
	v_add_co_u32_e32 v10, vcc, 0x100, v10
	v_addc_co_u32_e32 v11, vcc, 0, v11, vcc
	v_add_co_u32_e32 v12, vcc, 0x80, v12
	v_cmp_le_i32_e64 s[2:3], s13, v14
	v_addc_co_u32_e32 v13, vcc, 0, v13, vcc
	s_or_b64 s[8:9], s[2:3], s[8:9]
	s_waitcnt vmcnt(0)
	v_fmac_f64_e32 v[8:9], v[16:17], v[18:19]
	s_andn2_b64 exec, exec, s[8:9]
	s_cbranch_execnz .LBB2_8
; %bb.9:
	s_or_b64 exec, exec, s[8:9]
.LBB2_10:
	s_or_b64 exec, exec, s[14:15]
.LBB2_11:
	s_or_b64 exec, exec, s[6:7]
	s_movk_i32 s2, 0x200
	v_lshlrev_b32_e32 v7, 3, v0
	v_cmp_gt_u32_e32 vcc, s2, v0
	ds_write_b64 v7, v[8:9]
	s_waitcnt lgkmcnt(0)
	s_barrier
	s_and_saveexec_b64 s[2:3], vcc
	s_cbranch_execz .LBB2_13
; %bb.12:
	ds_read2st64_b64 v[8:11], v7 offset1:8
	s_waitcnt lgkmcnt(0)
	v_add_f64 v[8:9], v[10:11], v[8:9]
	ds_write_b64 v7, v[8:9]
.LBB2_13:
	s_or_b64 exec, exec, s[2:3]
	s_movk_i32 s2, 0x100
	v_cmp_gt_u32_e32 vcc, s2, v0
	s_waitcnt lgkmcnt(0)
	s_barrier
	s_and_saveexec_b64 s[2:3], vcc
	s_cbranch_execz .LBB2_15
; %bb.14:
	ds_read2st64_b64 v[8:11], v7 offset1:4
	s_waitcnt lgkmcnt(0)
	v_add_f64 v[8:9], v[10:11], v[8:9]
	ds_write_b64 v7, v[8:9]
.LBB2_15:
	s_or_b64 exec, exec, s[2:3]
	s_movk_i32 s2, 0x80
	v_cmp_gt_u32_e32 vcc, s2, v0
	s_waitcnt lgkmcnt(0)
	s_barrier
	s_and_saveexec_b64 s[2:3], vcc
	s_cbranch_execz .LBB2_17
; %bb.16:
	ds_read2st64_b64 v[8:11], v7 offset1:2
	s_waitcnt lgkmcnt(0)
	v_add_f64 v[8:9], v[10:11], v[8:9]
	ds_write_b64 v7, v[8:9]
.LBB2_17:
	s_or_b64 exec, exec, s[2:3]
	v_cmp_gt_u32_e32 vcc, 64, v0
	s_waitcnt lgkmcnt(0)
	s_barrier
	s_and_saveexec_b64 s[2:3], vcc
	s_cbranch_execz .LBB2_19
; %bb.18:
	ds_read2st64_b64 v[8:11], v7 offset1:1
	s_waitcnt lgkmcnt(0)
	v_add_f64 v[8:9], v[10:11], v[8:9]
	ds_write_b64 v7, v[8:9]
.LBB2_19:
	s_or_b64 exec, exec, s[2:3]
	v_cmp_lt_u32_e32 vcc, 31, v0
	v_cmp_gt_u32_e64 s[2:3], 32, v0
	s_waitcnt lgkmcnt(0)
	s_barrier
	s_and_saveexec_b64 s[6:7], s[2:3]
	s_cbranch_execz .LBB2_21
; %bb.20:
	ds_read2_b64 v[8:11], v7 offset1:32
	s_waitcnt lgkmcnt(0)
	v_add_f64 v[8:9], v[10:11], v[8:9]
	ds_write_b64 v7, v[8:9]
.LBB2_21:
	s_or_b64 exec, exec, s[6:7]
	s_or_b64 s[0:1], vcc, s[0:1]
	s_xor_b64 s[0:1], s[0:1], -1
	s_and_b64 exec, exec, s[0:1]
	s_cbranch_execz .LBB2_26
; %bb.22:
	v_lshlrev_b32_e32 v0, 3, v1
	s_load_dwordx2 s[0:1], s[4:5], 0x40
	ds_read_b64 v[0:1], v0
	v_cmp_eq_f64_e32 vcc, 0, v[4:5]
	v_ashrrev_i32_e32 v7, 31, v6
	s_and_saveexec_b64 s[2:3], vcc
	s_xor_b64 s[2:3], exec, s[2:3]
	s_cbranch_execz .LBB2_24
; %bb.23:
	s_waitcnt lgkmcnt(0)
	v_mul_f64 v[0:1], v[2:3], v[0:1]
	v_lshlrev_b64 v[2:3], 3, v[6:7]
	v_mov_b32_e32 v4, s1
	v_add_co_u32_e32 v2, vcc, s0, v2
	v_addc_co_u32_e32 v3, vcc, v4, v3, vcc
	global_store_dwordx2 v[2:3], v[0:1], off
                                        ; implicit-def: $vgpr6
                                        ; implicit-def: $vgpr4_vgpr5
                                        ; implicit-def: $vgpr2_vgpr3
                                        ; implicit-def: $vgpr0_vgpr1
.LBB2_24:
	s_andn2_saveexec_b64 s[2:3], s[2:3]
	s_cbranch_execz .LBB2_26
; %bb.25:
	v_lshlrev_b64 v[6:7], 3, v[6:7]
	s_waitcnt lgkmcnt(0)
	v_mov_b32_e32 v8, s1
	v_add_co_u32_e32 v6, vcc, s0, v6
	v_addc_co_u32_e32 v7, vcc, v8, v7, vcc
	global_load_dwordx2 v[8:9], v[6:7], off
	s_waitcnt vmcnt(0)
	v_mul_f64 v[4:5], v[4:5], v[8:9]
	v_fmac_f64_e32 v[4:5], v[2:3], v[0:1]
	global_store_dwordx2 v[6:7], v[4:5], off
.LBB2_26:
	s_endpgm
	.section	.rodata,"a",@progbits
	.p2align	6, 0x0
	.amdhsa_kernel _ZN9rocsparseL12gemvi_kernelILj1024ELj32EidEEvT1_S1_NS_24const_host_device_scalarIT2_EEPKS3_lS1_S6_PKS1_S4_PS3_21rocsparse_index_base_b
		.amdhsa_group_segment_fixed_size 8192
		.amdhsa_private_segment_fixed_size 0
		.amdhsa_kernarg_size 80
		.amdhsa_user_sgpr_count 6
		.amdhsa_user_sgpr_private_segment_buffer 1
		.amdhsa_user_sgpr_dispatch_ptr 0
		.amdhsa_user_sgpr_queue_ptr 0
		.amdhsa_user_sgpr_kernarg_segment_ptr 1
		.amdhsa_user_sgpr_dispatch_id 0
		.amdhsa_user_sgpr_flat_scratch_init 0
		.amdhsa_user_sgpr_kernarg_preload_length 0
		.amdhsa_user_sgpr_kernarg_preload_offset 0
		.amdhsa_user_sgpr_private_segment_size 0
		.amdhsa_uses_dynamic_stack 0
		.amdhsa_system_sgpr_private_segment_wavefront_offset 0
		.amdhsa_system_sgpr_workgroup_id_x 1
		.amdhsa_system_sgpr_workgroup_id_y 0
		.amdhsa_system_sgpr_workgroup_id_z 0
		.amdhsa_system_sgpr_workgroup_info 0
		.amdhsa_system_vgpr_workitem_id 0
		.amdhsa_next_free_vgpr 22
		.amdhsa_next_free_sgpr 20
		.amdhsa_accum_offset 24
		.amdhsa_reserve_vcc 1
		.amdhsa_reserve_flat_scratch 0
		.amdhsa_float_round_mode_32 0
		.amdhsa_float_round_mode_16_64 0
		.amdhsa_float_denorm_mode_32 3
		.amdhsa_float_denorm_mode_16_64 3
		.amdhsa_dx10_clamp 1
		.amdhsa_ieee_mode 1
		.amdhsa_fp16_overflow 0
		.amdhsa_tg_split 0
		.amdhsa_exception_fp_ieee_invalid_op 0
		.amdhsa_exception_fp_denorm_src 0
		.amdhsa_exception_fp_ieee_div_zero 0
		.amdhsa_exception_fp_ieee_overflow 0
		.amdhsa_exception_fp_ieee_underflow 0
		.amdhsa_exception_fp_ieee_inexact 0
		.amdhsa_exception_int_div_zero 0
	.end_amdhsa_kernel
	.section	.text._ZN9rocsparseL12gemvi_kernelILj1024ELj32EidEEvT1_S1_NS_24const_host_device_scalarIT2_EEPKS3_lS1_S6_PKS1_S4_PS3_21rocsparse_index_base_b,"axG",@progbits,_ZN9rocsparseL12gemvi_kernelILj1024ELj32EidEEvT1_S1_NS_24const_host_device_scalarIT2_EEPKS3_lS1_S6_PKS1_S4_PS3_21rocsparse_index_base_b,comdat
.Lfunc_end2:
	.size	_ZN9rocsparseL12gemvi_kernelILj1024ELj32EidEEvT1_S1_NS_24const_host_device_scalarIT2_EEPKS3_lS1_S6_PKS1_S4_PS3_21rocsparse_index_base_b, .Lfunc_end2-_ZN9rocsparseL12gemvi_kernelILj1024ELj32EidEEvT1_S1_NS_24const_host_device_scalarIT2_EEPKS3_lS1_S6_PKS1_S4_PS3_21rocsparse_index_base_b
                                        ; -- End function
	.section	.AMDGPU.csdata,"",@progbits
; Kernel info:
; codeLenInByte = 920
; NumSgprs: 24
; NumVgprs: 22
; NumAgprs: 0
; TotalNumVgprs: 22
; ScratchSize: 0
; MemoryBound: 0
; FloatMode: 240
; IeeeMode: 1
; LDSByteSize: 8192 bytes/workgroup (compile time only)
; SGPRBlocks: 2
; VGPRBlocks: 2
; NumSGPRsForWavesPerEU: 24
; NumVGPRsForWavesPerEU: 22
; AccumOffset: 24
; Occupancy: 8
; WaveLimiterHint : 1
; COMPUTE_PGM_RSRC2:SCRATCH_EN: 0
; COMPUTE_PGM_RSRC2:USER_SGPR: 6
; COMPUTE_PGM_RSRC2:TRAP_HANDLER: 0
; COMPUTE_PGM_RSRC2:TGID_X_EN: 1
; COMPUTE_PGM_RSRC2:TGID_Y_EN: 0
; COMPUTE_PGM_RSRC2:TGID_Z_EN: 0
; COMPUTE_PGM_RSRC2:TIDIG_COMP_CNT: 0
; COMPUTE_PGM_RSRC3_GFX90A:ACCUM_OFFSET: 5
; COMPUTE_PGM_RSRC3_GFX90A:TG_SPLIT: 0
	.section	.text._ZN9rocsparseL12gemvi_kernelILj1024ELj64EidEEvT1_S1_NS_24const_host_device_scalarIT2_EEPKS3_lS1_S6_PKS1_S4_PS3_21rocsparse_index_base_b,"axG",@progbits,_ZN9rocsparseL12gemvi_kernelILj1024ELj64EidEEvT1_S1_NS_24const_host_device_scalarIT2_EEPKS3_lS1_S6_PKS1_S4_PS3_21rocsparse_index_base_b,comdat
	.globl	_ZN9rocsparseL12gemvi_kernelILj1024ELj64EidEEvT1_S1_NS_24const_host_device_scalarIT2_EEPKS3_lS1_S6_PKS1_S4_PS3_21rocsparse_index_base_b ; -- Begin function _ZN9rocsparseL12gemvi_kernelILj1024ELj64EidEEvT1_S1_NS_24const_host_device_scalarIT2_EEPKS3_lS1_S6_PKS1_S4_PS3_21rocsparse_index_base_b
	.p2align	8
	.type	_ZN9rocsparseL12gemvi_kernelILj1024ELj64EidEEvT1_S1_NS_24const_host_device_scalarIT2_EEPKS3_lS1_S6_PKS1_S4_PS3_21rocsparse_index_base_b,@function
_ZN9rocsparseL12gemvi_kernelILj1024ELj64EidEEvT1_S1_NS_24const_host_device_scalarIT2_EEPKS3_lS1_S6_PKS1_S4_PS3_21rocsparse_index_base_b: ; @_ZN9rocsparseL12gemvi_kernelILj1024ELj64EidEEvT1_S1_NS_24const_host_device_scalarIT2_EEPKS3_lS1_S6_PKS1_S4_PS3_21rocsparse_index_base_b
; %bb.0:
	s_load_dwordx2 s[12:13], s[4:5], 0x48
	s_load_dwordx2 s[8:9], s[4:5], 0x8
	;; [unrolled: 1-line block ×3, first 2 shown]
	s_waitcnt lgkmcnt(0)
	s_bitcmp1_b32 s13, 0
	s_cselect_b64 s[10:11], -1, 0
	s_xor_b64 s[2:3], s[10:11], -1
	s_and_b64 vcc, exec, s[10:11]
	v_pk_mov_b32 v[2:3], s[8:9], s[8:9] op_sel:[0,1]
	s_cbranch_vccnz .LBB3_2
; %bb.1:
	v_pk_mov_b32 v[2:3], s[8:9], s[8:9] op_sel:[0,1]
	flat_load_dwordx2 v[2:3], v[2:3]
.LBB3_2:
	s_andn2_b64 vcc, exec, s[2:3]
	v_pk_mov_b32 v[4:5], s[0:1], s[0:1] op_sel:[0,1]
	s_cbranch_vccnz .LBB3_4
; %bb.3:
	v_pk_mov_b32 v[4:5], s[0:1], s[0:1] op_sel:[0,1]
	flat_load_dwordx2 v[4:5], v[4:5]
.LBB3_4:
	s_waitcnt vmcnt(0) lgkmcnt(0)
	v_cmp_neq_f64_e32 vcc, 0, v[2:3]
	v_cmp_neq_f64_e64 s[0:1], 1.0, v[4:5]
	s_or_b64 s[0:1], vcc, s[0:1]
	s_and_saveexec_b64 s[2:3], s[0:1]
	s_cbranch_execz .LBB3_24
; %bb.5:
	s_load_dword s2, s[4:5], 0x0
	v_and_b32_e32 v1, 63, v0
	v_lshl_or_b32 v6, s6, 6, v1
	v_pk_mov_b32 v[8:9], 0, 0
	s_waitcnt lgkmcnt(0)
	v_cmp_le_i32_e64 s[0:1], s2, v6
	v_cmp_gt_i32_e32 vcc, s2, v6
	s_and_saveexec_b64 s[6:7], vcc
	s_cbranch_execz .LBB3_11
; %bb.6:
	s_load_dword s13, s[4:5], 0x20
	v_lshrrev_b32_e32 v14, 6, v0
	v_pk_mov_b32 v[8:9], 0, 0
	s_waitcnt lgkmcnt(0)
	v_cmp_gt_i32_e32 vcc, s13, v14
	s_and_saveexec_b64 s[14:15], vcc
	s_cbranch_execz .LBB3_10
; %bb.7:
	s_load_dwordx4 s[8:11], s[4:5], 0x10
	s_load_dwordx4 s[16:19], s[4:5], 0x28
	v_ashrrev_i32_e32 v7, 31, v6
	v_lshlrev_b64 v[8:9], 3, v[6:7]
	s_waitcnt lgkmcnt(0)
	v_mov_b32_e32 v10, s9
	v_add_co_u32_e32 v7, vcc, s8, v8
	v_lshrrev_b32_e32 v8, 6, v0
	v_addc_co_u32_e32 v15, vcc, v10, v9, vcc
	v_lshlrev_b32_e32 v9, 3, v8
	v_mov_b32_e32 v11, s17
	v_add_co_u32_e32 v10, vcc, s16, v9
	v_addc_co_u32_e32 v11, vcc, 0, v11, vcc
	v_lshlrev_b32_e32 v8, 2, v8
	v_mov_b32_e32 v9, s19
	v_add_co_u32_e32 v12, vcc, s18, v8
	v_addc_co_u32_e32 v13, vcc, 0, v9, vcc
	s_mov_b64 s[8:9], 0
	v_pk_mov_b32 v[8:9], 0, 0
.LBB3_8:                                ; =>This Inner Loop Header: Depth=1
	global_load_dword v18, v[12:13], off
	global_load_dwordx2 v[16:17], v[10:11], off
	v_add_u32_e32 v14, 16, v14
	s_waitcnt vmcnt(1)
	v_subrev_u32_e32 v18, s12, v18
	v_ashrrev_i32_e32 v20, 31, v18
	v_mul_lo_u32 v21, v18, s11
	v_mad_u64_u32 v[18:19], s[2:3], v18, s10, 0
	v_mul_lo_u32 v20, v20, s10
	v_add3_u32 v19, v19, v21, v20
	v_lshlrev_b64 v[18:19], 3, v[18:19]
	v_add_co_u32_e32 v18, vcc, v7, v18
	v_addc_co_u32_e32 v19, vcc, v15, v19, vcc
	global_load_dwordx2 v[18:19], v[18:19], off
	v_add_co_u32_e32 v10, vcc, 0x80, v10
	v_addc_co_u32_e32 v11, vcc, 0, v11, vcc
	v_add_co_u32_e64 v12, s[2:3], 64, v12
	v_cmp_le_i32_e32 vcc, s13, v14
	v_addc_co_u32_e64 v13, s[2:3], 0, v13, s[2:3]
	s_or_b64 s[8:9], vcc, s[8:9]
	s_waitcnt vmcnt(0)
	v_fmac_f64_e32 v[8:9], v[16:17], v[18:19]
	s_andn2_b64 exec, exec, s[8:9]
	s_cbranch_execnz .LBB3_8
; %bb.9:
	s_or_b64 exec, exec, s[8:9]
.LBB3_10:
	s_or_b64 exec, exec, s[14:15]
.LBB3_11:
	s_or_b64 exec, exec, s[6:7]
	s_movk_i32 s2, 0x200
	v_lshlrev_b32_e32 v7, 3, v0
	v_cmp_gt_u32_e32 vcc, s2, v0
	ds_write_b64 v7, v[8:9]
	s_waitcnt lgkmcnt(0)
	s_barrier
	s_and_saveexec_b64 s[2:3], vcc
	s_cbranch_execz .LBB3_13
; %bb.12:
	ds_read2st64_b64 v[8:11], v7 offset1:8
	s_waitcnt lgkmcnt(0)
	v_add_f64 v[8:9], v[10:11], v[8:9]
	ds_write_b64 v7, v[8:9]
.LBB3_13:
	s_or_b64 exec, exec, s[2:3]
	s_movk_i32 s2, 0x100
	v_cmp_gt_u32_e32 vcc, s2, v0
	s_waitcnt lgkmcnt(0)
	s_barrier
	s_and_saveexec_b64 s[2:3], vcc
	s_cbranch_execz .LBB3_15
; %bb.14:
	ds_read2st64_b64 v[8:11], v7 offset1:4
	s_waitcnt lgkmcnt(0)
	v_add_f64 v[8:9], v[10:11], v[8:9]
	ds_write_b64 v7, v[8:9]
.LBB3_15:
	s_or_b64 exec, exec, s[2:3]
	s_movk_i32 s2, 0x80
	v_cmp_gt_u32_e32 vcc, s2, v0
	s_waitcnt lgkmcnt(0)
	s_barrier
	s_and_saveexec_b64 s[2:3], vcc
	s_cbranch_execz .LBB3_17
; %bb.16:
	ds_read2st64_b64 v[8:11], v7 offset1:2
	s_waitcnt lgkmcnt(0)
	v_add_f64 v[8:9], v[10:11], v[8:9]
	ds_write_b64 v7, v[8:9]
.LBB3_17:
	s_or_b64 exec, exec, s[2:3]
	v_cmp_lt_u32_e32 vcc, 63, v0
	v_cmp_gt_u32_e64 s[2:3], 64, v0
	s_waitcnt lgkmcnt(0)
	s_barrier
	s_and_saveexec_b64 s[6:7], s[2:3]
	s_cbranch_execz .LBB3_19
; %bb.18:
	ds_read2st64_b64 v[8:11], v7 offset1:1
	s_waitcnt lgkmcnt(0)
	v_add_f64 v[8:9], v[10:11], v[8:9]
	ds_write_b64 v7, v[8:9]
.LBB3_19:
	s_or_b64 exec, exec, s[6:7]
	s_or_b64 s[0:1], vcc, s[0:1]
	s_xor_b64 s[0:1], s[0:1], -1
	s_and_b64 exec, exec, s[0:1]
	s_cbranch_execz .LBB3_24
; %bb.20:
	v_lshlrev_b32_e32 v0, 3, v1
	s_load_dwordx2 s[0:1], s[4:5], 0x40
	ds_read_b64 v[0:1], v0
	v_cmp_eq_f64_e32 vcc, 0, v[4:5]
	v_ashrrev_i32_e32 v7, 31, v6
	s_and_saveexec_b64 s[2:3], vcc
	s_xor_b64 s[2:3], exec, s[2:3]
	s_cbranch_execz .LBB3_22
; %bb.21:
	s_waitcnt lgkmcnt(0)
	v_mul_f64 v[0:1], v[2:3], v[0:1]
	v_lshlrev_b64 v[2:3], 3, v[6:7]
	v_mov_b32_e32 v4, s1
	v_add_co_u32_e32 v2, vcc, s0, v2
	v_addc_co_u32_e32 v3, vcc, v4, v3, vcc
	global_store_dwordx2 v[2:3], v[0:1], off
                                        ; implicit-def: $vgpr6
                                        ; implicit-def: $vgpr4_vgpr5
                                        ; implicit-def: $vgpr2_vgpr3
                                        ; implicit-def: $vgpr0_vgpr1
.LBB3_22:
	s_andn2_saveexec_b64 s[2:3], s[2:3]
	s_cbranch_execz .LBB3_24
; %bb.23:
	v_lshlrev_b64 v[6:7], 3, v[6:7]
	s_waitcnt lgkmcnt(0)
	v_mov_b32_e32 v8, s1
	v_add_co_u32_e32 v6, vcc, s0, v6
	v_addc_co_u32_e32 v7, vcc, v8, v7, vcc
	global_load_dwordx2 v[8:9], v[6:7], off
	s_waitcnt vmcnt(0)
	v_mul_f64 v[4:5], v[4:5], v[8:9]
	v_fmac_f64_e32 v[4:5], v[2:3], v[0:1]
	global_store_dwordx2 v[6:7], v[4:5], off
.LBB3_24:
	s_endpgm
	.section	.rodata,"a",@progbits
	.p2align	6, 0x0
	.amdhsa_kernel _ZN9rocsparseL12gemvi_kernelILj1024ELj64EidEEvT1_S1_NS_24const_host_device_scalarIT2_EEPKS3_lS1_S6_PKS1_S4_PS3_21rocsparse_index_base_b
		.amdhsa_group_segment_fixed_size 8192
		.amdhsa_private_segment_fixed_size 0
		.amdhsa_kernarg_size 80
		.amdhsa_user_sgpr_count 6
		.amdhsa_user_sgpr_private_segment_buffer 1
		.amdhsa_user_sgpr_dispatch_ptr 0
		.amdhsa_user_sgpr_queue_ptr 0
		.amdhsa_user_sgpr_kernarg_segment_ptr 1
		.amdhsa_user_sgpr_dispatch_id 0
		.amdhsa_user_sgpr_flat_scratch_init 0
		.amdhsa_user_sgpr_kernarg_preload_length 0
		.amdhsa_user_sgpr_kernarg_preload_offset 0
		.amdhsa_user_sgpr_private_segment_size 0
		.amdhsa_uses_dynamic_stack 0
		.amdhsa_system_sgpr_private_segment_wavefront_offset 0
		.amdhsa_system_sgpr_workgroup_id_x 1
		.amdhsa_system_sgpr_workgroup_id_y 0
		.amdhsa_system_sgpr_workgroup_id_z 0
		.amdhsa_system_sgpr_workgroup_info 0
		.amdhsa_system_vgpr_workitem_id 0
		.amdhsa_next_free_vgpr 22
		.amdhsa_next_free_sgpr 20
		.amdhsa_accum_offset 24
		.amdhsa_reserve_vcc 1
		.amdhsa_reserve_flat_scratch 0
		.amdhsa_float_round_mode_32 0
		.amdhsa_float_round_mode_16_64 0
		.amdhsa_float_denorm_mode_32 3
		.amdhsa_float_denorm_mode_16_64 3
		.amdhsa_dx10_clamp 1
		.amdhsa_ieee_mode 1
		.amdhsa_fp16_overflow 0
		.amdhsa_tg_split 0
		.amdhsa_exception_fp_ieee_invalid_op 0
		.amdhsa_exception_fp_denorm_src 0
		.amdhsa_exception_fp_ieee_div_zero 0
		.amdhsa_exception_fp_ieee_overflow 0
		.amdhsa_exception_fp_ieee_underflow 0
		.amdhsa_exception_fp_ieee_inexact 0
		.amdhsa_exception_int_div_zero 0
	.end_amdhsa_kernel
	.section	.text._ZN9rocsparseL12gemvi_kernelILj1024ELj64EidEEvT1_S1_NS_24const_host_device_scalarIT2_EEPKS3_lS1_S6_PKS1_S4_PS3_21rocsparse_index_base_b,"axG",@progbits,_ZN9rocsparseL12gemvi_kernelILj1024ELj64EidEEvT1_S1_NS_24const_host_device_scalarIT2_EEPKS3_lS1_S6_PKS1_S4_PS3_21rocsparse_index_base_b,comdat
.Lfunc_end3:
	.size	_ZN9rocsparseL12gemvi_kernelILj1024ELj64EidEEvT1_S1_NS_24const_host_device_scalarIT2_EEPKS3_lS1_S6_PKS1_S4_PS3_21rocsparse_index_base_b, .Lfunc_end3-_ZN9rocsparseL12gemvi_kernelILj1024ELj64EidEEvT1_S1_NS_24const_host_device_scalarIT2_EEPKS3_lS1_S6_PKS1_S4_PS3_21rocsparse_index_base_b
                                        ; -- End function
	.section	.AMDGPU.csdata,"",@progbits
; Kernel info:
; codeLenInByte = 868
; NumSgprs: 24
; NumVgprs: 22
; NumAgprs: 0
; TotalNumVgprs: 22
; ScratchSize: 0
; MemoryBound: 0
; FloatMode: 240
; IeeeMode: 1
; LDSByteSize: 8192 bytes/workgroup (compile time only)
; SGPRBlocks: 2
; VGPRBlocks: 2
; NumSGPRsForWavesPerEU: 24
; NumVGPRsForWavesPerEU: 22
; AccumOffset: 24
; Occupancy: 8
; WaveLimiterHint : 1
; COMPUTE_PGM_RSRC2:SCRATCH_EN: 0
; COMPUTE_PGM_RSRC2:USER_SGPR: 6
; COMPUTE_PGM_RSRC2:TRAP_HANDLER: 0
; COMPUTE_PGM_RSRC2:TGID_X_EN: 1
; COMPUTE_PGM_RSRC2:TGID_Y_EN: 0
; COMPUTE_PGM_RSRC2:TGID_Z_EN: 0
; COMPUTE_PGM_RSRC2:TIDIG_COMP_CNT: 0
; COMPUTE_PGM_RSRC3_GFX90A:ACCUM_OFFSET: 5
; COMPUTE_PGM_RSRC3_GFX90A:TG_SPLIT: 0
	.section	.text._ZN9rocsparseL12gemvi_kernelILj1024ELj32Ei21rocsparse_complex_numIfEEEvT1_S3_NS_24const_host_device_scalarIT2_EEPKS5_lS3_S8_PKS3_S6_PS5_21rocsparse_index_base_b,"axG",@progbits,_ZN9rocsparseL12gemvi_kernelILj1024ELj32Ei21rocsparse_complex_numIfEEEvT1_S3_NS_24const_host_device_scalarIT2_EEPKS5_lS3_S8_PKS3_S6_PS5_21rocsparse_index_base_b,comdat
	.globl	_ZN9rocsparseL12gemvi_kernelILj1024ELj32Ei21rocsparse_complex_numIfEEEvT1_S3_NS_24const_host_device_scalarIT2_EEPKS5_lS3_S8_PKS3_S6_PS5_21rocsparse_index_base_b ; -- Begin function _ZN9rocsparseL12gemvi_kernelILj1024ELj32Ei21rocsparse_complex_numIfEEEvT1_S3_NS_24const_host_device_scalarIT2_EEPKS5_lS3_S8_PKS3_S6_PS5_21rocsparse_index_base_b
	.p2align	8
	.type	_ZN9rocsparseL12gemvi_kernelILj1024ELj32Ei21rocsparse_complex_numIfEEEvT1_S3_NS_24const_host_device_scalarIT2_EEPKS5_lS3_S8_PKS3_S6_PS5_21rocsparse_index_base_b,@function
_ZN9rocsparseL12gemvi_kernelILj1024ELj32Ei21rocsparse_complex_numIfEEEvT1_S3_NS_24const_host_device_scalarIT2_EEPKS5_lS3_S8_PKS3_S6_PS5_21rocsparse_index_base_b: ; @_ZN9rocsparseL12gemvi_kernelILj1024ELj32Ei21rocsparse_complex_numIfEEEvT1_S3_NS_24const_host_device_scalarIT2_EEPKS5_lS3_S8_PKS3_S6_PS5_21rocsparse_index_base_b
; %bb.0:
	s_load_dwordx2 s[12:13], s[4:5], 0x48
	s_load_dwordx2 s[8:9], s[4:5], 0x8
	;; [unrolled: 1-line block ×3, first 2 shown]
	s_waitcnt lgkmcnt(0)
	s_bitcmp1_b32 s13, 0
	s_cselect_b64 s[0:1], -1, 0
	s_xor_b64 s[10:11], s[0:1], -1
	s_and_b64 vcc, exec, s[0:1]
	v_mov_b32_e32 v2, s8
	s_cbranch_vccnz .LBB4_2
; %bb.1:
	v_pk_mov_b32 v[2:3], s[8:9], s[8:9] op_sel:[0,1]
	flat_load_dword v2, v[2:3]
.LBB4_2:
	v_cndmask_b32_e64 v1, 0, 1, s[10:11]
	v_cmp_ne_u32_e64 s[0:1], 1, v1
	s_andn2_b64 vcc, exec, s[10:11]
	v_mov_b32_e32 v3, s9
	s_cbranch_vccz .LBB4_31
; %bb.3:
	s_and_b64 vcc, exec, s[0:1]
	v_mov_b32_e32 v4, s2
	s_cbranch_vccz .LBB4_32
.LBB4_4:
	s_and_b64 vcc, exec, s[0:1]
	v_mov_b32_e32 v5, s3
	s_cbranch_vccnz .LBB4_6
.LBB4_5:
	v_pk_mov_b32 v[6:7], s[2:3], s[2:3] op_sel:[0,1]
	flat_load_dword v5, v[6:7] offset:4
.LBB4_6:
	s_waitcnt vmcnt(0) lgkmcnt(0)
	v_and_b32_e32 v1, 0x7fffffff, v2
	v_cmp_eq_u32_e32 vcc, 0, v1
	v_cmp_eq_f32_e64 s[0:1], 0, v3
	s_and_b64 s[8:9], vcc, s[0:1]
	s_mov_b64 s[0:1], -1
	s_and_saveexec_b64 s[2:3], s[8:9]
; %bb.7:
	v_and_b32_e32 v1, 0x7fffffff, v5
	v_cmp_neq_f32_e32 vcc, 1.0, v4
	v_cmp_ne_u32_e64 s[0:1], 0, v1
	s_or_b64 s[0:1], vcc, s[0:1]
	s_orn2_b64 s[0:1], s[0:1], exec
; %bb.8:
	s_or_b64 exec, exec, s[2:3]
	s_and_saveexec_b64 s[2:3], s[0:1]
	s_cbranch_execz .LBB4_30
; %bb.9:
	s_load_dword s2, s[4:5], 0x0
	v_and_b32_e32 v1, 31, v0
	v_mov_b32_e32 v8, 0
	v_lshl_or_b32 v6, s6, 5, v1
	v_mov_b32_e32 v9, v8
	s_waitcnt lgkmcnt(0)
	v_cmp_le_i32_e64 s[0:1], s2, v6
	v_cmp_gt_i32_e32 vcc, s2, v6
	s_and_saveexec_b64 s[6:7], vcc
	s_cbranch_execz .LBB4_15
; %bb.10:
	s_load_dword s13, s[4:5], 0x20
	v_lshrrev_b32_e32 v14, 5, v0
	v_mov_b32_e32 v9, 0
	v_mov_b32_e32 v8, v9
	s_waitcnt lgkmcnt(0)
	v_cmp_gt_i32_e32 vcc, s13, v14
	s_and_saveexec_b64 s[14:15], vcc
	s_cbranch_execz .LBB4_14
; %bb.11:
	s_load_dwordx4 s[8:11], s[4:5], 0x10
	s_load_dwordx4 s[16:19], s[4:5], 0x28
	v_ashrrev_i32_e32 v7, 31, v6
	v_lshlrev_b64 v[8:9], 3, v[6:7]
	s_waitcnt lgkmcnt(0)
	v_mov_b32_e32 v10, s9
	v_add_co_u32_e32 v7, vcc, s8, v8
	v_lshrrev_b32_e32 v8, 5, v0
	v_addc_co_u32_e32 v15, vcc, v10, v9, vcc
	v_lshlrev_b32_e32 v9, 3, v8
	v_mov_b32_e32 v11, s17
	v_add_co_u32_e32 v10, vcc, s16, v9
	v_addc_co_u32_e32 v11, vcc, 0, v11, vcc
	v_lshlrev_b32_e32 v8, 2, v8
	v_mov_b32_e32 v9, s19
	v_add_co_u32_e32 v12, vcc, s18, v8
	v_mov_b32_e32 v8, 0
	v_addc_co_u32_e32 v13, vcc, 0, v9, vcc
	s_mov_b64 s[8:9], 0
	v_mov_b32_e32 v9, v8
.LBB4_12:                               ; =>This Inner Loop Header: Depth=1
	global_load_dword v18, v[12:13], off
	global_load_dwordx2 v[16:17], v[10:11], off
	v_add_u32_e32 v14, 32, v14
	s_waitcnt vmcnt(1)
	v_subrev_u32_e32 v18, s12, v18
	v_ashrrev_i32_e32 v20, 31, v18
	v_mul_lo_u32 v21, v18, s11
	v_mad_u64_u32 v[18:19], s[2:3], v18, s10, 0
	v_mul_lo_u32 v20, v20, s10
	v_add3_u32 v19, v19, v21, v20
	v_lshlrev_b64 v[18:19], 3, v[18:19]
	v_add_co_u32_e32 v18, vcc, v7, v18
	v_addc_co_u32_e32 v19, vcc, v15, v19, vcc
	global_load_dwordx2 v[18:19], v[18:19], off
	v_add_co_u32_e32 v10, vcc, 0x100, v10
	v_addc_co_u32_e32 v11, vcc, 0, v11, vcc
	v_add_co_u32_e32 v12, vcc, 0x80, v12
	v_cmp_le_i32_e64 s[2:3], s13, v14
	v_addc_co_u32_e32 v13, vcc, 0, v13, vcc
	s_or_b64 s[8:9], s[2:3], s[8:9]
	s_waitcnt vmcnt(0)
	v_pk_fma_f32 v[8:9], v[16:17], v[18:19], v[8:9] op_sel_hi:[1,0,1]
	v_pk_fma_f32 v[8:9], v[16:17], v[18:19], v[8:9] op_sel:[1,1,0] op_sel_hi:[0,1,1] neg_lo:[1,0,0]
	s_andn2_b64 exec, exec, s[8:9]
	s_cbranch_execnz .LBB4_12
; %bb.13:
	s_or_b64 exec, exec, s[8:9]
.LBB4_14:
	s_or_b64 exec, exec, s[14:15]
.LBB4_15:
	s_or_b64 exec, exec, s[6:7]
	s_movk_i32 s2, 0x200
	v_lshlrev_b32_e32 v7, 3, v0
	v_cmp_gt_u32_e32 vcc, s2, v0
	ds_write_b64 v7, v[8:9]
	s_waitcnt lgkmcnt(0)
	s_barrier
	s_and_saveexec_b64 s[2:3], vcc
	s_cbranch_execz .LBB4_17
; %bb.16:
	ds_read2st64_b64 v[8:11], v7 offset1:8
	s_waitcnt lgkmcnt(0)
	v_pk_add_f32 v[8:9], v[10:11], v[8:9]
	ds_write_b64 v7, v[8:9]
.LBB4_17:
	s_or_b64 exec, exec, s[2:3]
	s_movk_i32 s2, 0x100
	v_cmp_gt_u32_e32 vcc, s2, v0
	s_waitcnt lgkmcnt(0)
	s_barrier
	s_and_saveexec_b64 s[2:3], vcc
	s_cbranch_execz .LBB4_19
; %bb.18:
	ds_read2st64_b64 v[8:11], v7 offset1:4
	s_waitcnt lgkmcnt(0)
	v_pk_add_f32 v[8:9], v[10:11], v[8:9]
	ds_write_b64 v7, v[8:9]
.LBB4_19:
	s_or_b64 exec, exec, s[2:3]
	s_movk_i32 s2, 0x80
	v_cmp_gt_u32_e32 vcc, s2, v0
	s_waitcnt lgkmcnt(0)
	s_barrier
	s_and_saveexec_b64 s[2:3], vcc
	s_cbranch_execz .LBB4_21
; %bb.20:
	ds_read2st64_b64 v[8:11], v7 offset1:2
	s_waitcnt lgkmcnt(0)
	v_pk_add_f32 v[8:9], v[10:11], v[8:9]
	ds_write_b64 v7, v[8:9]
.LBB4_21:
	s_or_b64 exec, exec, s[2:3]
	v_cmp_gt_u32_e32 vcc, 64, v0
	s_waitcnt lgkmcnt(0)
	s_barrier
	s_and_saveexec_b64 s[2:3], vcc
	s_cbranch_execz .LBB4_23
; %bb.22:
	ds_read2st64_b64 v[8:11], v7 offset1:1
	s_waitcnt lgkmcnt(0)
	v_pk_add_f32 v[8:9], v[10:11], v[8:9]
	ds_write_b64 v7, v[8:9]
.LBB4_23:
	s_or_b64 exec, exec, s[2:3]
	v_cmp_lt_u32_e32 vcc, 31, v0
	v_cmp_gt_u32_e64 s[2:3], 32, v0
	s_waitcnt lgkmcnt(0)
	s_barrier
	s_and_saveexec_b64 s[6:7], s[2:3]
	s_cbranch_execz .LBB4_25
; %bb.24:
	ds_read2_b64 v[8:11], v7 offset1:32
	s_waitcnt lgkmcnt(0)
	v_pk_add_f32 v[8:9], v[10:11], v[8:9]
	ds_write_b64 v7, v[8:9]
.LBB4_25:
	s_or_b64 exec, exec, s[6:7]
	s_or_b64 s[0:1], vcc, s[0:1]
	s_xor_b64 s[0:1], s[0:1], -1
	s_and_b64 exec, exec, s[0:1]
	s_cbranch_execz .LBB4_30
; %bb.26:
	v_lshlrev_b32_e32 v0, 3, v1
	s_load_dwordx2 s[0:1], s[4:5], 0x40
	ds_read_b64 v[0:1], v0
	v_or_b32_e32 v7, v4, v5
	v_and_b32_e32 v7, 0x7fffffff, v7
	v_cmp_eq_u32_e32 vcc, 0, v7
	v_ashrrev_i32_e32 v7, 31, v6
	s_and_saveexec_b64 s[2:3], vcc
	s_xor_b64 s[2:3], exec, s[2:3]
	s_cbranch_execz .LBB4_28
; %bb.27:
	v_lshlrev_b64 v[6:7], 3, v[6:7]
	s_waitcnt lgkmcnt(0)
	v_mov_b32_e32 v5, s1
	v_add_co_u32_e32 v6, vcc, s0, v6
	v_xor_b32_e32 v4, 0x80000000, v3
	v_addc_co_u32_e32 v7, vcc, v5, v7, vcc
	v_mov_b32_e32 v8, v1
	v_mov_b32_e32 v5, v2
	v_pk_mul_f32 v[4:5], v[8:9], v[4:5] op_sel_hi:[0,1]
	v_pk_fma_f32 v[0:1], v[2:3], v[0:1], v[4:5] op_sel_hi:[1,0,1]
	global_store_dwordx2 v[6:7], v[0:1], off
                                        ; implicit-def: $vgpr4
                                        ; implicit-def: $vgpr6
                                        ; implicit-def: $vgpr3
                                        ; implicit-def: $vgpr0_vgpr1
.LBB4_28:
	s_andn2_saveexec_b64 s[2:3], s[2:3]
	s_cbranch_execz .LBB4_30
; %bb.29:
	v_lshlrev_b64 v[6:7], 3, v[6:7]
	s_waitcnt lgkmcnt(0)
	v_mov_b32_e32 v8, s1
	v_add_co_u32_e32 v6, vcc, s0, v6
	v_addc_co_u32_e32 v7, vcc, v8, v7, vcc
	global_load_dwordx2 v[8:9], v[6:7], off
	v_xor_b32_e32 v10, 0x80000000, v5
	v_mov_b32_e32 v11, v4
	v_xor_b32_e32 v12, 0x80000000, v3
	v_mov_b32_e32 v13, v2
	s_waitcnt vmcnt(0)
	v_pk_mul_f32 v[10:11], v[8:9], v[10:11] op_sel:[1,0]
	v_pk_fma_f32 v[4:5], v[4:5], v[8:9], v[10:11] op_sel_hi:[1,0,1]
	v_pk_fma_f32 v[2:3], v[2:3], v[0:1], v[4:5] op_sel_hi:[1,0,1]
	v_mov_b32_e32 v0, v1
	v_pk_fma_f32 v[0:1], v[12:13], v[0:1], v[2:3] op_sel_hi:[1,0,1]
	global_store_dwordx2 v[6:7], v[0:1], off
.LBB4_30:
	s_endpgm
.LBB4_31:
	v_pk_mov_b32 v[4:5], s[8:9], s[8:9] op_sel:[0,1]
	flat_load_dword v3, v[4:5] offset:4
	s_and_b64 vcc, exec, s[0:1]
	v_mov_b32_e32 v4, s2
	s_cbranch_vccnz .LBB4_4
.LBB4_32:
	v_pk_mov_b32 v[4:5], s[2:3], s[2:3] op_sel:[0,1]
	flat_load_dword v4, v[4:5]
	s_and_b64 vcc, exec, s[0:1]
	v_mov_b32_e32 v5, s3
	s_cbranch_vccz .LBB4_5
	s_branch .LBB4_6
	.section	.rodata,"a",@progbits
	.p2align	6, 0x0
	.amdhsa_kernel _ZN9rocsparseL12gemvi_kernelILj1024ELj32Ei21rocsparse_complex_numIfEEEvT1_S3_NS_24const_host_device_scalarIT2_EEPKS5_lS3_S8_PKS3_S6_PS5_21rocsparse_index_base_b
		.amdhsa_group_segment_fixed_size 8192
		.amdhsa_private_segment_fixed_size 0
		.amdhsa_kernarg_size 80
		.amdhsa_user_sgpr_count 6
		.amdhsa_user_sgpr_private_segment_buffer 1
		.amdhsa_user_sgpr_dispatch_ptr 0
		.amdhsa_user_sgpr_queue_ptr 0
		.amdhsa_user_sgpr_kernarg_segment_ptr 1
		.amdhsa_user_sgpr_dispatch_id 0
		.amdhsa_user_sgpr_flat_scratch_init 0
		.amdhsa_user_sgpr_kernarg_preload_length 0
		.amdhsa_user_sgpr_kernarg_preload_offset 0
		.amdhsa_user_sgpr_private_segment_size 0
		.amdhsa_uses_dynamic_stack 0
		.amdhsa_system_sgpr_private_segment_wavefront_offset 0
		.amdhsa_system_sgpr_workgroup_id_x 1
		.amdhsa_system_sgpr_workgroup_id_y 0
		.amdhsa_system_sgpr_workgroup_id_z 0
		.amdhsa_system_sgpr_workgroup_info 0
		.amdhsa_system_vgpr_workitem_id 0
		.amdhsa_next_free_vgpr 22
		.amdhsa_next_free_sgpr 20
		.amdhsa_accum_offset 24
		.amdhsa_reserve_vcc 1
		.amdhsa_reserve_flat_scratch 0
		.amdhsa_float_round_mode_32 0
		.amdhsa_float_round_mode_16_64 0
		.amdhsa_float_denorm_mode_32 3
		.amdhsa_float_denorm_mode_16_64 3
		.amdhsa_dx10_clamp 1
		.amdhsa_ieee_mode 1
		.amdhsa_fp16_overflow 0
		.amdhsa_tg_split 0
		.amdhsa_exception_fp_ieee_invalid_op 0
		.amdhsa_exception_fp_denorm_src 0
		.amdhsa_exception_fp_ieee_div_zero 0
		.amdhsa_exception_fp_ieee_overflow 0
		.amdhsa_exception_fp_ieee_underflow 0
		.amdhsa_exception_fp_ieee_inexact 0
		.amdhsa_exception_int_div_zero 0
	.end_amdhsa_kernel
	.section	.text._ZN9rocsparseL12gemvi_kernelILj1024ELj32Ei21rocsparse_complex_numIfEEEvT1_S3_NS_24const_host_device_scalarIT2_EEPKS5_lS3_S8_PKS3_S6_PS5_21rocsparse_index_base_b,"axG",@progbits,_ZN9rocsparseL12gemvi_kernelILj1024ELj32Ei21rocsparse_complex_numIfEEEvT1_S3_NS_24const_host_device_scalarIT2_EEPKS5_lS3_S8_PKS3_S6_PS5_21rocsparse_index_base_b,comdat
.Lfunc_end4:
	.size	_ZN9rocsparseL12gemvi_kernelILj1024ELj32Ei21rocsparse_complex_numIfEEEvT1_S3_NS_24const_host_device_scalarIT2_EEPKS5_lS3_S8_PKS3_S6_PS5_21rocsparse_index_base_b, .Lfunc_end4-_ZN9rocsparseL12gemvi_kernelILj1024ELj32Ei21rocsparse_complex_numIfEEEvT1_S3_NS_24const_host_device_scalarIT2_EEPKS5_lS3_S8_PKS3_S6_PS5_21rocsparse_index_base_b
                                        ; -- End function
	.section	.AMDGPU.csdata,"",@progbits
; Kernel info:
; codeLenInByte = 1156
; NumSgprs: 24
; NumVgprs: 22
; NumAgprs: 0
; TotalNumVgprs: 22
; ScratchSize: 0
; MemoryBound: 0
; FloatMode: 240
; IeeeMode: 1
; LDSByteSize: 8192 bytes/workgroup (compile time only)
; SGPRBlocks: 2
; VGPRBlocks: 2
; NumSGPRsForWavesPerEU: 24
; NumVGPRsForWavesPerEU: 22
; AccumOffset: 24
; Occupancy: 8
; WaveLimiterHint : 1
; COMPUTE_PGM_RSRC2:SCRATCH_EN: 0
; COMPUTE_PGM_RSRC2:USER_SGPR: 6
; COMPUTE_PGM_RSRC2:TRAP_HANDLER: 0
; COMPUTE_PGM_RSRC2:TGID_X_EN: 1
; COMPUTE_PGM_RSRC2:TGID_Y_EN: 0
; COMPUTE_PGM_RSRC2:TGID_Z_EN: 0
; COMPUTE_PGM_RSRC2:TIDIG_COMP_CNT: 0
; COMPUTE_PGM_RSRC3_GFX90A:ACCUM_OFFSET: 5
; COMPUTE_PGM_RSRC3_GFX90A:TG_SPLIT: 0
	.section	.text._ZN9rocsparseL12gemvi_kernelILj1024ELj64Ei21rocsparse_complex_numIfEEEvT1_S3_NS_24const_host_device_scalarIT2_EEPKS5_lS3_S8_PKS3_S6_PS5_21rocsparse_index_base_b,"axG",@progbits,_ZN9rocsparseL12gemvi_kernelILj1024ELj64Ei21rocsparse_complex_numIfEEEvT1_S3_NS_24const_host_device_scalarIT2_EEPKS5_lS3_S8_PKS3_S6_PS5_21rocsparse_index_base_b,comdat
	.globl	_ZN9rocsparseL12gemvi_kernelILj1024ELj64Ei21rocsparse_complex_numIfEEEvT1_S3_NS_24const_host_device_scalarIT2_EEPKS5_lS3_S8_PKS3_S6_PS5_21rocsparse_index_base_b ; -- Begin function _ZN9rocsparseL12gemvi_kernelILj1024ELj64Ei21rocsparse_complex_numIfEEEvT1_S3_NS_24const_host_device_scalarIT2_EEPKS5_lS3_S8_PKS3_S6_PS5_21rocsparse_index_base_b
	.p2align	8
	.type	_ZN9rocsparseL12gemvi_kernelILj1024ELj64Ei21rocsparse_complex_numIfEEEvT1_S3_NS_24const_host_device_scalarIT2_EEPKS5_lS3_S8_PKS3_S6_PS5_21rocsparse_index_base_b,@function
_ZN9rocsparseL12gemvi_kernelILj1024ELj64Ei21rocsparse_complex_numIfEEEvT1_S3_NS_24const_host_device_scalarIT2_EEPKS5_lS3_S8_PKS3_S6_PS5_21rocsparse_index_base_b: ; @_ZN9rocsparseL12gemvi_kernelILj1024ELj64Ei21rocsparse_complex_numIfEEEvT1_S3_NS_24const_host_device_scalarIT2_EEPKS5_lS3_S8_PKS3_S6_PS5_21rocsparse_index_base_b
; %bb.0:
	s_load_dwordx2 s[12:13], s[4:5], 0x48
	s_load_dwordx2 s[8:9], s[4:5], 0x8
	;; [unrolled: 1-line block ×3, first 2 shown]
	s_waitcnt lgkmcnt(0)
	s_bitcmp1_b32 s13, 0
	s_cselect_b64 s[0:1], -1, 0
	s_xor_b64 s[10:11], s[0:1], -1
	s_and_b64 vcc, exec, s[0:1]
	v_mov_b32_e32 v2, s8
	s_cbranch_vccnz .LBB5_2
; %bb.1:
	v_pk_mov_b32 v[2:3], s[8:9], s[8:9] op_sel:[0,1]
	flat_load_dword v2, v[2:3]
.LBB5_2:
	v_cndmask_b32_e64 v1, 0, 1, s[10:11]
	v_cmp_ne_u32_e64 s[0:1], 1, v1
	s_andn2_b64 vcc, exec, s[10:11]
	v_mov_b32_e32 v3, s9
	s_cbranch_vccz .LBB5_29
; %bb.3:
	s_and_b64 vcc, exec, s[0:1]
	v_mov_b32_e32 v4, s2
	s_cbranch_vccz .LBB5_30
.LBB5_4:
	s_and_b64 vcc, exec, s[0:1]
	v_mov_b32_e32 v5, s3
	s_cbranch_vccnz .LBB5_6
.LBB5_5:
	v_pk_mov_b32 v[6:7], s[2:3], s[2:3] op_sel:[0,1]
	flat_load_dword v5, v[6:7] offset:4
.LBB5_6:
	s_waitcnt vmcnt(0) lgkmcnt(0)
	v_and_b32_e32 v1, 0x7fffffff, v2
	v_cmp_eq_u32_e32 vcc, 0, v1
	v_cmp_eq_f32_e64 s[0:1], 0, v3
	s_and_b64 s[8:9], vcc, s[0:1]
	s_mov_b64 s[0:1], -1
	s_and_saveexec_b64 s[2:3], s[8:9]
; %bb.7:
	v_and_b32_e32 v1, 0x7fffffff, v5
	v_cmp_neq_f32_e32 vcc, 1.0, v4
	v_cmp_ne_u32_e64 s[0:1], 0, v1
	s_or_b64 s[0:1], vcc, s[0:1]
	s_orn2_b64 s[0:1], s[0:1], exec
; %bb.8:
	s_or_b64 exec, exec, s[2:3]
	s_and_saveexec_b64 s[2:3], s[0:1]
	s_cbranch_execz .LBB5_28
; %bb.9:
	s_load_dword s2, s[4:5], 0x0
	v_and_b32_e32 v1, 63, v0
	v_mov_b32_e32 v8, 0
	v_lshl_or_b32 v6, s6, 6, v1
	v_mov_b32_e32 v9, v8
	s_waitcnt lgkmcnt(0)
	v_cmp_le_i32_e64 s[0:1], s2, v6
	v_cmp_gt_i32_e32 vcc, s2, v6
	s_and_saveexec_b64 s[6:7], vcc
	s_cbranch_execz .LBB5_15
; %bb.10:
	s_load_dword s13, s[4:5], 0x20
	v_lshrrev_b32_e32 v14, 6, v0
	v_mov_b32_e32 v9, 0
	v_mov_b32_e32 v8, v9
	s_waitcnt lgkmcnt(0)
	v_cmp_gt_i32_e32 vcc, s13, v14
	s_and_saveexec_b64 s[14:15], vcc
	s_cbranch_execz .LBB5_14
; %bb.11:
	s_load_dwordx4 s[8:11], s[4:5], 0x10
	s_load_dwordx4 s[16:19], s[4:5], 0x28
	v_ashrrev_i32_e32 v7, 31, v6
	v_lshlrev_b64 v[8:9], 3, v[6:7]
	s_waitcnt lgkmcnt(0)
	v_mov_b32_e32 v10, s9
	v_add_co_u32_e32 v7, vcc, s8, v8
	v_lshrrev_b32_e32 v8, 6, v0
	v_addc_co_u32_e32 v15, vcc, v10, v9, vcc
	v_lshlrev_b32_e32 v9, 3, v8
	v_mov_b32_e32 v11, s17
	v_add_co_u32_e32 v10, vcc, s16, v9
	v_addc_co_u32_e32 v11, vcc, 0, v11, vcc
	v_lshlrev_b32_e32 v8, 2, v8
	v_mov_b32_e32 v9, s19
	v_add_co_u32_e32 v12, vcc, s18, v8
	v_mov_b32_e32 v8, 0
	v_addc_co_u32_e32 v13, vcc, 0, v9, vcc
	s_mov_b64 s[8:9], 0
	v_mov_b32_e32 v9, v8
.LBB5_12:                               ; =>This Inner Loop Header: Depth=1
	global_load_dword v18, v[12:13], off
	global_load_dwordx2 v[16:17], v[10:11], off
	v_add_u32_e32 v14, 16, v14
	s_waitcnt vmcnt(1)
	v_subrev_u32_e32 v18, s12, v18
	v_ashrrev_i32_e32 v20, 31, v18
	v_mul_lo_u32 v21, v18, s11
	v_mad_u64_u32 v[18:19], s[2:3], v18, s10, 0
	v_mul_lo_u32 v20, v20, s10
	v_add3_u32 v19, v19, v21, v20
	v_lshlrev_b64 v[18:19], 3, v[18:19]
	v_add_co_u32_e32 v18, vcc, v7, v18
	v_addc_co_u32_e32 v19, vcc, v15, v19, vcc
	global_load_dwordx2 v[18:19], v[18:19], off
	v_add_co_u32_e32 v10, vcc, 0x80, v10
	v_addc_co_u32_e32 v11, vcc, 0, v11, vcc
	v_add_co_u32_e64 v12, s[2:3], 64, v12
	v_cmp_le_i32_e32 vcc, s13, v14
	v_addc_co_u32_e64 v13, s[2:3], 0, v13, s[2:3]
	s_or_b64 s[8:9], vcc, s[8:9]
	s_waitcnt vmcnt(0)
	v_pk_fma_f32 v[8:9], v[16:17], v[18:19], v[8:9] op_sel_hi:[1,0,1]
	v_pk_fma_f32 v[8:9], v[16:17], v[18:19], v[8:9] op_sel:[1,1,0] op_sel_hi:[0,1,1] neg_lo:[1,0,0]
	s_andn2_b64 exec, exec, s[8:9]
	s_cbranch_execnz .LBB5_12
; %bb.13:
	s_or_b64 exec, exec, s[8:9]
.LBB5_14:
	s_or_b64 exec, exec, s[14:15]
.LBB5_15:
	s_or_b64 exec, exec, s[6:7]
	s_movk_i32 s2, 0x200
	v_lshlrev_b32_e32 v7, 3, v0
	v_cmp_gt_u32_e32 vcc, s2, v0
	ds_write_b64 v7, v[8:9]
	s_waitcnt lgkmcnt(0)
	s_barrier
	s_and_saveexec_b64 s[2:3], vcc
	s_cbranch_execz .LBB5_17
; %bb.16:
	ds_read2st64_b64 v[8:11], v7 offset1:8
	s_waitcnt lgkmcnt(0)
	v_pk_add_f32 v[8:9], v[10:11], v[8:9]
	ds_write_b64 v7, v[8:9]
.LBB5_17:
	s_or_b64 exec, exec, s[2:3]
	s_movk_i32 s2, 0x100
	v_cmp_gt_u32_e32 vcc, s2, v0
	s_waitcnt lgkmcnt(0)
	s_barrier
	s_and_saveexec_b64 s[2:3], vcc
	s_cbranch_execz .LBB5_19
; %bb.18:
	ds_read2st64_b64 v[8:11], v7 offset1:4
	s_waitcnt lgkmcnt(0)
	v_pk_add_f32 v[8:9], v[10:11], v[8:9]
	ds_write_b64 v7, v[8:9]
.LBB5_19:
	s_or_b64 exec, exec, s[2:3]
	s_movk_i32 s2, 0x80
	v_cmp_gt_u32_e32 vcc, s2, v0
	s_waitcnt lgkmcnt(0)
	s_barrier
	s_and_saveexec_b64 s[2:3], vcc
	s_cbranch_execz .LBB5_21
; %bb.20:
	ds_read2st64_b64 v[8:11], v7 offset1:2
	s_waitcnt lgkmcnt(0)
	v_pk_add_f32 v[8:9], v[10:11], v[8:9]
	ds_write_b64 v7, v[8:9]
.LBB5_21:
	s_or_b64 exec, exec, s[2:3]
	v_cmp_lt_u32_e32 vcc, 63, v0
	v_cmp_gt_u32_e64 s[2:3], 64, v0
	s_waitcnt lgkmcnt(0)
	s_barrier
	s_and_saveexec_b64 s[6:7], s[2:3]
	s_cbranch_execz .LBB5_23
; %bb.22:
	ds_read2st64_b64 v[8:11], v7 offset1:1
	s_waitcnt lgkmcnt(0)
	v_pk_add_f32 v[8:9], v[10:11], v[8:9]
	ds_write_b64 v7, v[8:9]
.LBB5_23:
	s_or_b64 exec, exec, s[6:7]
	s_or_b64 s[0:1], vcc, s[0:1]
	s_xor_b64 s[0:1], s[0:1], -1
	s_and_b64 exec, exec, s[0:1]
	s_cbranch_execz .LBB5_28
; %bb.24:
	v_lshlrev_b32_e32 v0, 3, v1
	s_load_dwordx2 s[0:1], s[4:5], 0x40
	ds_read_b64 v[0:1], v0
	v_or_b32_e32 v7, v4, v5
	v_and_b32_e32 v7, 0x7fffffff, v7
	v_cmp_eq_u32_e32 vcc, 0, v7
	v_ashrrev_i32_e32 v7, 31, v6
	s_and_saveexec_b64 s[2:3], vcc
	s_xor_b64 s[2:3], exec, s[2:3]
	s_cbranch_execz .LBB5_26
; %bb.25:
	v_lshlrev_b64 v[6:7], 3, v[6:7]
	s_waitcnt lgkmcnt(0)
	v_mov_b32_e32 v5, s1
	v_add_co_u32_e32 v6, vcc, s0, v6
	v_xor_b32_e32 v4, 0x80000000, v3
	v_addc_co_u32_e32 v7, vcc, v5, v7, vcc
	v_mov_b32_e32 v8, v1
	v_mov_b32_e32 v5, v2
	v_pk_mul_f32 v[4:5], v[8:9], v[4:5] op_sel_hi:[0,1]
	v_pk_fma_f32 v[0:1], v[2:3], v[0:1], v[4:5] op_sel_hi:[1,0,1]
	global_store_dwordx2 v[6:7], v[0:1], off
                                        ; implicit-def: $vgpr4
                                        ; implicit-def: $vgpr6
                                        ; implicit-def: $vgpr3
                                        ; implicit-def: $vgpr0_vgpr1
.LBB5_26:
	s_andn2_saveexec_b64 s[2:3], s[2:3]
	s_cbranch_execz .LBB5_28
; %bb.27:
	v_lshlrev_b64 v[6:7], 3, v[6:7]
	s_waitcnt lgkmcnt(0)
	v_mov_b32_e32 v8, s1
	v_add_co_u32_e32 v6, vcc, s0, v6
	v_addc_co_u32_e32 v7, vcc, v8, v7, vcc
	global_load_dwordx2 v[8:9], v[6:7], off
	v_xor_b32_e32 v10, 0x80000000, v5
	v_mov_b32_e32 v11, v4
	v_xor_b32_e32 v12, 0x80000000, v3
	v_mov_b32_e32 v13, v2
	s_waitcnt vmcnt(0)
	v_pk_mul_f32 v[10:11], v[8:9], v[10:11] op_sel:[1,0]
	v_pk_fma_f32 v[4:5], v[4:5], v[8:9], v[10:11] op_sel_hi:[1,0,1]
	v_pk_fma_f32 v[2:3], v[2:3], v[0:1], v[4:5] op_sel_hi:[1,0,1]
	v_mov_b32_e32 v0, v1
	v_pk_fma_f32 v[0:1], v[12:13], v[0:1], v[2:3] op_sel_hi:[1,0,1]
	global_store_dwordx2 v[6:7], v[0:1], off
.LBB5_28:
	s_endpgm
.LBB5_29:
	v_pk_mov_b32 v[4:5], s[8:9], s[8:9] op_sel:[0,1]
	flat_load_dword v3, v[4:5] offset:4
	s_and_b64 vcc, exec, s[0:1]
	v_mov_b32_e32 v4, s2
	s_cbranch_vccnz .LBB5_4
.LBB5_30:
	v_pk_mov_b32 v[4:5], s[2:3], s[2:3] op_sel:[0,1]
	flat_load_dword v4, v[4:5]
	s_and_b64 vcc, exec, s[0:1]
	v_mov_b32_e32 v5, s3
	s_cbranch_vccz .LBB5_5
	s_branch .LBB5_6
	.section	.rodata,"a",@progbits
	.p2align	6, 0x0
	.amdhsa_kernel _ZN9rocsparseL12gemvi_kernelILj1024ELj64Ei21rocsparse_complex_numIfEEEvT1_S3_NS_24const_host_device_scalarIT2_EEPKS5_lS3_S8_PKS3_S6_PS5_21rocsparse_index_base_b
		.amdhsa_group_segment_fixed_size 8192
		.amdhsa_private_segment_fixed_size 0
		.amdhsa_kernarg_size 80
		.amdhsa_user_sgpr_count 6
		.amdhsa_user_sgpr_private_segment_buffer 1
		.amdhsa_user_sgpr_dispatch_ptr 0
		.amdhsa_user_sgpr_queue_ptr 0
		.amdhsa_user_sgpr_kernarg_segment_ptr 1
		.amdhsa_user_sgpr_dispatch_id 0
		.amdhsa_user_sgpr_flat_scratch_init 0
		.amdhsa_user_sgpr_kernarg_preload_length 0
		.amdhsa_user_sgpr_kernarg_preload_offset 0
		.amdhsa_user_sgpr_private_segment_size 0
		.amdhsa_uses_dynamic_stack 0
		.amdhsa_system_sgpr_private_segment_wavefront_offset 0
		.amdhsa_system_sgpr_workgroup_id_x 1
		.amdhsa_system_sgpr_workgroup_id_y 0
		.amdhsa_system_sgpr_workgroup_id_z 0
		.amdhsa_system_sgpr_workgroup_info 0
		.amdhsa_system_vgpr_workitem_id 0
		.amdhsa_next_free_vgpr 22
		.amdhsa_next_free_sgpr 20
		.amdhsa_accum_offset 24
		.amdhsa_reserve_vcc 1
		.amdhsa_reserve_flat_scratch 0
		.amdhsa_float_round_mode_32 0
		.amdhsa_float_round_mode_16_64 0
		.amdhsa_float_denorm_mode_32 3
		.amdhsa_float_denorm_mode_16_64 3
		.amdhsa_dx10_clamp 1
		.amdhsa_ieee_mode 1
		.amdhsa_fp16_overflow 0
		.amdhsa_tg_split 0
		.amdhsa_exception_fp_ieee_invalid_op 0
		.amdhsa_exception_fp_denorm_src 0
		.amdhsa_exception_fp_ieee_div_zero 0
		.amdhsa_exception_fp_ieee_overflow 0
		.amdhsa_exception_fp_ieee_underflow 0
		.amdhsa_exception_fp_ieee_inexact 0
		.amdhsa_exception_int_div_zero 0
	.end_amdhsa_kernel
	.section	.text._ZN9rocsparseL12gemvi_kernelILj1024ELj64Ei21rocsparse_complex_numIfEEEvT1_S3_NS_24const_host_device_scalarIT2_EEPKS5_lS3_S8_PKS3_S6_PS5_21rocsparse_index_base_b,"axG",@progbits,_ZN9rocsparseL12gemvi_kernelILj1024ELj64Ei21rocsparse_complex_numIfEEEvT1_S3_NS_24const_host_device_scalarIT2_EEPKS5_lS3_S8_PKS3_S6_PS5_21rocsparse_index_base_b,comdat
.Lfunc_end5:
	.size	_ZN9rocsparseL12gemvi_kernelILj1024ELj64Ei21rocsparse_complex_numIfEEEvT1_S3_NS_24const_host_device_scalarIT2_EEPKS5_lS3_S8_PKS3_S6_PS5_21rocsparse_index_base_b, .Lfunc_end5-_ZN9rocsparseL12gemvi_kernelILj1024ELj64Ei21rocsparse_complex_numIfEEEvT1_S3_NS_24const_host_device_scalarIT2_EEPKS5_lS3_S8_PKS3_S6_PS5_21rocsparse_index_base_b
                                        ; -- End function
	.section	.AMDGPU.csdata,"",@progbits
; Kernel info:
; codeLenInByte = 1104
; NumSgprs: 24
; NumVgprs: 22
; NumAgprs: 0
; TotalNumVgprs: 22
; ScratchSize: 0
; MemoryBound: 0
; FloatMode: 240
; IeeeMode: 1
; LDSByteSize: 8192 bytes/workgroup (compile time only)
; SGPRBlocks: 2
; VGPRBlocks: 2
; NumSGPRsForWavesPerEU: 24
; NumVGPRsForWavesPerEU: 22
; AccumOffset: 24
; Occupancy: 8
; WaveLimiterHint : 1
; COMPUTE_PGM_RSRC2:SCRATCH_EN: 0
; COMPUTE_PGM_RSRC2:USER_SGPR: 6
; COMPUTE_PGM_RSRC2:TRAP_HANDLER: 0
; COMPUTE_PGM_RSRC2:TGID_X_EN: 1
; COMPUTE_PGM_RSRC2:TGID_Y_EN: 0
; COMPUTE_PGM_RSRC2:TGID_Z_EN: 0
; COMPUTE_PGM_RSRC2:TIDIG_COMP_CNT: 0
; COMPUTE_PGM_RSRC3_GFX90A:ACCUM_OFFSET: 5
; COMPUTE_PGM_RSRC3_GFX90A:TG_SPLIT: 0
	.section	.text._ZN9rocsparseL12gemvi_kernelILj1024ELj32Ei21rocsparse_complex_numIdEEEvT1_S3_NS_24const_host_device_scalarIT2_EEPKS5_lS3_S8_PKS3_S6_PS5_21rocsparse_index_base_b,"axG",@progbits,_ZN9rocsparseL12gemvi_kernelILj1024ELj32Ei21rocsparse_complex_numIdEEEvT1_S3_NS_24const_host_device_scalarIT2_EEPKS5_lS3_S8_PKS3_S6_PS5_21rocsparse_index_base_b,comdat
	.globl	_ZN9rocsparseL12gemvi_kernelILj1024ELj32Ei21rocsparse_complex_numIdEEEvT1_S3_NS_24const_host_device_scalarIT2_EEPKS5_lS3_S8_PKS3_S6_PS5_21rocsparse_index_base_b ; -- Begin function _ZN9rocsparseL12gemvi_kernelILj1024ELj32Ei21rocsparse_complex_numIdEEEvT1_S3_NS_24const_host_device_scalarIT2_EEPKS5_lS3_S8_PKS3_S6_PS5_21rocsparse_index_base_b
	.p2align	8
	.type	_ZN9rocsparseL12gemvi_kernelILj1024ELj32Ei21rocsparse_complex_numIdEEEvT1_S3_NS_24const_host_device_scalarIT2_EEPKS5_lS3_S8_PKS3_S6_PS5_21rocsparse_index_base_b,@function
_ZN9rocsparseL12gemvi_kernelILj1024ELj32Ei21rocsparse_complex_numIdEEEvT1_S3_NS_24const_host_device_scalarIT2_EEPKS5_lS3_S8_PKS3_S6_PS5_21rocsparse_index_base_b: ; @_ZN9rocsparseL12gemvi_kernelILj1024ELj32Ei21rocsparse_complex_numIdEEEvT1_S3_NS_24const_host_device_scalarIT2_EEPKS5_lS3_S8_PKS3_S6_PS5_21rocsparse_index_base_b
; %bb.0:
	s_load_dwordx2 s[20:21], s[6:7], 0x58
	s_load_dwordx4 s[16:19], s[6:7], 0x8
	s_load_dwordx4 s[12:15], s[6:7], 0x40
	s_mov_b64 s[2:3], src_shared_base
	s_load_dwordx2 s[4:5], s[4:5], 0x4
	s_waitcnt lgkmcnt(0)
	s_bitcmp1_b32 s21, 0
	s_cselect_b64 s[0:1], -1, 0
	s_and_b64 vcc, s[0:1], exec
	s_cselect_b32 s2, s3, s17
	s_lshr_b32 s4, s4, 16
	v_and_b32_e32 v18, 0x3ff, v0
	s_mul_i32 s4, s4, s5
	v_mul_lo_u32 v1, s4, v18
	v_bfe_u32 v2, v0, 10, 10
	v_mad_u32_u24 v1, v2, s5, v1
	v_bfe_u32 v0, v0, 20, 10
	v_add_lshl_u32 v6, v1, v0, 3
	v_mov_b32_e32 v4, s16
	v_add_u32_e32 v5, 0x6000, v6
	v_pk_mov_b32 v[0:1], s[16:17], s[16:17] op_sel:[0,1]
	v_pk_mov_b32 v[2:3], s[12:13], s[12:13] op_sel:[0,1]
	ds_write2st64_b64 v6, v[2:3], v[0:1] offset0:32 offset1:48
	v_cndmask_b32_e64 v0, v4, v5, s[0:1]
	v_mov_b32_e32 v1, s2
	flat_load_dwordx2 v[4:5], v[0:1]
	s_xor_b64 s[4:5], s[0:1], -1
	v_add_u32_e32 v0, 0x4000, v6
	v_pk_mov_b32 v[6:7], s[18:19], s[18:19] op_sel:[0,1]
	s_cbranch_vccnz .LBB6_2
; %bb.1:
	v_pk_mov_b32 v[2:3], s[16:17], s[16:17] op_sel:[0,1]
	flat_load_dwordx2 v[6:7], v[2:3] offset:8
.LBB6_2:
	s_and_b64 s[10:11], s[0:1], exec
	s_cselect_b32 s2, s3, s13
	v_mov_b32_e32 v1, s12
	v_cndmask_b32_e64 v0, v1, v0, s[0:1]
	v_mov_b32_e32 v1, s2
	flat_load_dwordx2 v[8:9], v[0:1]
	s_andn2_b64 vcc, exec, s[4:5]
	v_pk_mov_b32 v[10:11], s[14:15], s[14:15] op_sel:[0,1]
	s_cbranch_vccnz .LBB6_4
; %bb.3:
	v_pk_mov_b32 v[0:1], s[12:13], s[12:13] op_sel:[0,1]
	flat_load_dwordx2 v[10:11], v[0:1] offset:8
.LBB6_4:
	s_waitcnt vmcnt(0) lgkmcnt(0)
	v_cmp_eq_f64_e32 vcc, 0, v[4:5]
	v_cmp_eq_f64_e64 s[0:1], 0, v[6:7]
	s_and_b64 s[4:5], vcc, s[0:1]
	s_mov_b64 s[0:1], -1
	s_and_saveexec_b64 s[2:3], s[4:5]
; %bb.5:
	v_cmp_neq_f64_e32 vcc, 1.0, v[8:9]
	v_cmp_neq_f64_e64 s[0:1], 0, v[10:11]
	s_or_b64 s[0:1], vcc, s[0:1]
	s_orn2_b64 s[0:1], s[0:1], exec
; %bb.6:
	s_or_b64 exec, exec, s[2:3]
	s_and_saveexec_b64 s[2:3], s[0:1]
	s_cbranch_execz .LBB6_28
; %bb.7:
	s_load_dword s2, s[6:7], 0x0
	v_and_b32_e32 v19, 31, v18
	v_pk_mov_b32 v[0:1], 0, 0
	v_lshl_or_b32 v12, s8, 5, v19
	v_pk_mov_b32 v[2:3], v[0:1], v[0:1] op_sel:[0,1]
	s_waitcnt lgkmcnt(0)
	v_cmp_le_i32_e64 s[0:1], s2, v12
	v_cmp_gt_i32_e32 vcc, s2, v12
	s_and_saveexec_b64 s[4:5], vcc
	s_cbranch_execz .LBB6_13
; %bb.8:
	s_load_dword s14, s[6:7], 0x28
	v_lshrrev_b32_e32 v20, 5, v18
	v_pk_mov_b32 v[2:3], 0, 0
	v_pk_mov_b32 v[0:1], v[2:3], v[2:3] op_sel:[0,1]
	s_waitcnt lgkmcnt(0)
	v_cmp_gt_i32_e32 vcc, s14, v20
	s_and_saveexec_b64 s[12:13], vcc
	s_cbranch_execz .LBB6_12
; %bb.9:
	s_load_dwordx4 s[8:11], s[6:7], 0x18
	s_load_dwordx4 s[16:19], s[6:7], 0x30
	v_ashrrev_i32_e32 v13, 31, v12
	v_lshlrev_b64 v[0:1], 4, v[12:13]
	s_waitcnt lgkmcnt(0)
	v_mov_b32_e32 v2, s9
	v_add_co_u32_e32 v13, vcc, s8, v0
	v_lshrrev_b32_e32 v0, 5, v18
	v_addc_co_u32_e32 v21, vcc, v2, v1, vcc
	v_lshlrev_b32_e32 v1, 4, v0
	v_mov_b32_e32 v2, s17
	v_add_co_u32_e32 v1, vcc, s16, v1
	v_addc_co_u32_e32 v2, vcc, 0, v2, vcc
	v_add_co_u32_e32 v14, vcc, 8, v1
	v_addc_co_u32_e32 v15, vcc, 0, v2, vcc
	v_lshlrev_b32_e32 v0, 2, v0
	v_mov_b32_e32 v1, s19
	v_add_co_u32_e32 v16, vcc, s18, v0
	v_pk_mov_b32 v[2:3], 0, 0
	v_addc_co_u32_e32 v17, vcc, 0, v1, vcc
	s_mov_b64 s[8:9], 0
	v_pk_mov_b32 v[0:1], v[2:3], v[2:3] op_sel:[0,1]
.LBB6_10:                               ; =>This Inner Loop Header: Depth=1
	global_load_dword v26, v[16:17], off
	global_load_dwordx4 v[22:25], v[14:15], off offset:-8
	v_add_u32_e32 v20, 32, v20
	s_waitcnt vmcnt(1)
	v_subrev_u32_e32 v26, s20, v26
	v_ashrrev_i32_e32 v28, 31, v26
	v_mul_lo_u32 v29, v26, s11
	v_mad_u64_u32 v[26:27], s[2:3], v26, s10, 0
	v_mul_lo_u32 v28, v28, s10
	v_add3_u32 v27, v27, v29, v28
	v_lshlrev_b64 v[26:27], 4, v[26:27]
	v_add_co_u32_e32 v26, vcc, v13, v26
	v_addc_co_u32_e32 v27, vcc, v21, v27, vcc
	global_load_dwordx4 v[26:29], v[26:27], off
	v_add_co_u32_e32 v14, vcc, 0x200, v14
	v_addc_co_u32_e32 v15, vcc, 0, v15, vcc
	v_add_co_u32_e32 v16, vcc, 0x80, v16
	v_cmp_le_i32_e64 s[2:3], s14, v20
	v_addc_co_u32_e32 v17, vcc, 0, v17, vcc
	s_or_b64 s[8:9], s[2:3], s[8:9]
	s_waitcnt vmcnt(0)
	v_fmac_f64_e32 v[0:1], v[22:23], v[26:27]
	v_fmac_f64_e32 v[2:3], v[24:25], v[26:27]
	v_fma_f64 v[0:1], -v[24:25], v[28:29], v[0:1]
	v_fmac_f64_e32 v[2:3], v[22:23], v[28:29]
	s_andn2_b64 exec, exec, s[8:9]
	s_cbranch_execnz .LBB6_10
; %bb.11:
	s_or_b64 exec, exec, s[8:9]
.LBB6_12:
	s_or_b64 exec, exec, s[12:13]
.LBB6_13:
	s_or_b64 exec, exec, s[4:5]
	s_movk_i32 s2, 0x200
	v_lshlrev_b32_e32 v13, 4, v18
	v_cmp_gt_u32_e32 vcc, s2, v18
	ds_write_b128 v13, v[0:3]
	s_waitcnt lgkmcnt(0)
	s_barrier
	s_and_saveexec_b64 s[2:3], vcc
	s_cbranch_execz .LBB6_15
; %bb.14:
	ds_read_b128 v[0:3], v13 offset:8192
	ds_read_b128 v[14:17], v13
	s_waitcnt lgkmcnt(0)
	v_add_f64 v[0:1], v[0:1], v[14:15]
	v_add_f64 v[2:3], v[2:3], v[16:17]
	ds_write_b128 v13, v[0:3]
.LBB6_15:
	s_or_b64 exec, exec, s[2:3]
	s_movk_i32 s2, 0x100
	v_cmp_gt_u32_e32 vcc, s2, v18
	s_waitcnt lgkmcnt(0)
	s_barrier
	s_and_saveexec_b64 s[2:3], vcc
	s_cbranch_execz .LBB6_17
; %bb.16:
	ds_read_b128 v[0:3], v13 offset:4096
	ds_read_b128 v[14:17], v13
	s_waitcnt lgkmcnt(0)
	v_add_f64 v[0:1], v[0:1], v[14:15]
	v_add_f64 v[2:3], v[2:3], v[16:17]
	ds_write_b128 v13, v[0:3]
.LBB6_17:
	s_or_b64 exec, exec, s[2:3]
	s_movk_i32 s2, 0x80
	v_cmp_gt_u32_e32 vcc, s2, v18
	s_waitcnt lgkmcnt(0)
	s_barrier
	s_and_saveexec_b64 s[2:3], vcc
	s_cbranch_execz .LBB6_19
; %bb.18:
	ds_read_b128 v[0:3], v13 offset:2048
	ds_read_b128 v[14:17], v13
	s_waitcnt lgkmcnt(0)
	v_add_f64 v[0:1], v[0:1], v[14:15]
	v_add_f64 v[2:3], v[2:3], v[16:17]
	ds_write_b128 v13, v[0:3]
.LBB6_19:
	s_or_b64 exec, exec, s[2:3]
	v_cmp_gt_u32_e32 vcc, 64, v18
	s_waitcnt lgkmcnt(0)
	s_barrier
	s_and_saveexec_b64 s[2:3], vcc
	s_cbranch_execz .LBB6_21
; %bb.20:
	ds_read_b128 v[0:3], v13 offset:1024
	ds_read_b128 v[14:17], v13
	s_waitcnt lgkmcnt(0)
	v_add_f64 v[0:1], v[0:1], v[14:15]
	v_add_f64 v[2:3], v[2:3], v[16:17]
	ds_write_b128 v13, v[0:3]
.LBB6_21:
	s_or_b64 exec, exec, s[2:3]
	v_cmp_lt_u32_e32 vcc, 31, v18
	v_cmp_gt_u32_e64 s[2:3], 32, v18
	s_waitcnt lgkmcnt(0)
	s_barrier
	s_and_saveexec_b64 s[4:5], s[2:3]
	s_cbranch_execz .LBB6_23
; %bb.22:
	ds_read_b128 v[0:3], v13 offset:512
	ds_read_b128 v[14:17], v13
	s_waitcnt lgkmcnt(0)
	v_add_f64 v[0:1], v[0:1], v[14:15]
	v_add_f64 v[2:3], v[2:3], v[16:17]
	ds_write_b128 v13, v[0:3]
.LBB6_23:
	s_or_b64 exec, exec, s[4:5]
	s_or_b64 s[0:1], vcc, s[0:1]
	s_xor_b64 s[0:1], s[0:1], -1
	s_and_b64 exec, exec, s[0:1]
	s_cbranch_execz .LBB6_28
; %bb.24:
	v_lshlrev_b32_e32 v0, 4, v19
	s_load_dwordx2 s[2:3], s[6:7], 0x50
	ds_read_b128 v[0:3], v0
	v_cmp_eq_f64_e32 vcc, 0, v[8:9]
	v_cmp_eq_f64_e64 s[0:1], 0, v[10:11]
	s_and_b64 s[0:1], vcc, s[0:1]
	v_ashrrev_i32_e32 v13, 31, v12
	s_and_saveexec_b64 s[4:5], s[0:1]
	s_xor_b64 s[0:1], exec, s[4:5]
	s_cbranch_execz .LBB6_26
; %bb.25:
	s_waitcnt lgkmcnt(0)
	v_mul_f64 v[8:9], v[2:3], -v[6:7]
	v_mul_f64 v[10:11], v[4:5], v[2:3]
	v_fmac_f64_e32 v[8:9], v[4:5], v[0:1]
	v_fmac_f64_e32 v[10:11], v[6:7], v[0:1]
	v_lshlrev_b64 v[0:1], 4, v[12:13]
	v_mov_b32_e32 v2, s3
	v_add_co_u32_e32 v0, vcc, s2, v0
	v_addc_co_u32_e32 v1, vcc, v2, v1, vcc
	global_store_dwordx4 v[0:1], v[8:11], off
                                        ; implicit-def: $vgpr12
                                        ; implicit-def: $vgpr10_vgpr11
                                        ; implicit-def: $vgpr8_vgpr9
                                        ; implicit-def: $vgpr4_vgpr5
                                        ; implicit-def: $vgpr0_vgpr1
                                        ; implicit-def: $vgpr6_vgpr7
.LBB6_26:
	s_andn2_saveexec_b64 s[0:1], s[0:1]
	s_cbranch_execz .LBB6_28
; %bb.27:
	v_lshlrev_b64 v[12:13], 4, v[12:13]
	s_waitcnt lgkmcnt(0)
	v_mov_b32_e32 v14, s3
	v_add_co_u32_e32 v16, vcc, s2, v12
	v_addc_co_u32_e32 v17, vcc, v14, v13, vcc
	global_load_dwordx4 v[12:15], v[16:17], off
	s_waitcnt vmcnt(0)
	v_mul_f64 v[18:19], v[14:15], -v[10:11]
	v_mul_f64 v[14:15], v[8:9], v[14:15]
	v_fmac_f64_e32 v[18:19], v[8:9], v[12:13]
	v_fmac_f64_e32 v[14:15], v[10:11], v[12:13]
	;; [unrolled: 1-line block ×4, first 2 shown]
	v_fma_f64 v[12:13], -v[6:7], v[2:3], v[18:19]
	v_fmac_f64_e32 v[14:15], v[4:5], v[2:3]
	global_store_dwordx4 v[16:17], v[12:15], off
.LBB6_28:
	s_endpgm
	.section	.rodata,"a",@progbits
	.p2align	6, 0x0
	.amdhsa_kernel _ZN9rocsparseL12gemvi_kernelILj1024ELj32Ei21rocsparse_complex_numIdEEEvT1_S3_NS_24const_host_device_scalarIT2_EEPKS5_lS3_S8_PKS3_S6_PS5_21rocsparse_index_base_b
		.amdhsa_group_segment_fixed_size 32768
		.amdhsa_private_segment_fixed_size 0
		.amdhsa_kernarg_size 96
		.amdhsa_user_sgpr_count 8
		.amdhsa_user_sgpr_private_segment_buffer 1
		.amdhsa_user_sgpr_dispatch_ptr 1
		.amdhsa_user_sgpr_queue_ptr 0
		.amdhsa_user_sgpr_kernarg_segment_ptr 1
		.amdhsa_user_sgpr_dispatch_id 0
		.amdhsa_user_sgpr_flat_scratch_init 0
		.amdhsa_user_sgpr_kernarg_preload_length 0
		.amdhsa_user_sgpr_kernarg_preload_offset 0
		.amdhsa_user_sgpr_private_segment_size 0
		.amdhsa_uses_dynamic_stack 0
		.amdhsa_system_sgpr_private_segment_wavefront_offset 0
		.amdhsa_system_sgpr_workgroup_id_x 1
		.amdhsa_system_sgpr_workgroup_id_y 0
		.amdhsa_system_sgpr_workgroup_id_z 0
		.amdhsa_system_sgpr_workgroup_info 0
		.amdhsa_system_vgpr_workitem_id 2
		.amdhsa_next_free_vgpr 30
		.amdhsa_next_free_sgpr 22
		.amdhsa_accum_offset 32
		.amdhsa_reserve_vcc 1
		.amdhsa_reserve_flat_scratch 0
		.amdhsa_float_round_mode_32 0
		.amdhsa_float_round_mode_16_64 0
		.amdhsa_float_denorm_mode_32 3
		.amdhsa_float_denorm_mode_16_64 3
		.amdhsa_dx10_clamp 1
		.amdhsa_ieee_mode 1
		.amdhsa_fp16_overflow 0
		.amdhsa_tg_split 0
		.amdhsa_exception_fp_ieee_invalid_op 0
		.amdhsa_exception_fp_denorm_src 0
		.amdhsa_exception_fp_ieee_div_zero 0
		.amdhsa_exception_fp_ieee_overflow 0
		.amdhsa_exception_fp_ieee_underflow 0
		.amdhsa_exception_fp_ieee_inexact 0
		.amdhsa_exception_int_div_zero 0
	.end_amdhsa_kernel
	.section	.text._ZN9rocsparseL12gemvi_kernelILj1024ELj32Ei21rocsparse_complex_numIdEEEvT1_S3_NS_24const_host_device_scalarIT2_EEPKS5_lS3_S8_PKS3_S6_PS5_21rocsparse_index_base_b,"axG",@progbits,_ZN9rocsparseL12gemvi_kernelILj1024ELj32Ei21rocsparse_complex_numIdEEEvT1_S3_NS_24const_host_device_scalarIT2_EEPKS5_lS3_S8_PKS3_S6_PS5_21rocsparse_index_base_b,comdat
.Lfunc_end6:
	.size	_ZN9rocsparseL12gemvi_kernelILj1024ELj32Ei21rocsparse_complex_numIdEEEvT1_S3_NS_24const_host_device_scalarIT2_EEPKS5_lS3_S8_PKS3_S6_PS5_21rocsparse_index_base_b, .Lfunc_end6-_ZN9rocsparseL12gemvi_kernelILj1024ELj32Ei21rocsparse_complex_numIdEEEvT1_S3_NS_24const_host_device_scalarIT2_EEPKS5_lS3_S8_PKS3_S6_PS5_21rocsparse_index_base_b
                                        ; -- End function
	.section	.AMDGPU.csdata,"",@progbits
; Kernel info:
; codeLenInByte = 1308
; NumSgprs: 26
; NumVgprs: 30
; NumAgprs: 0
; TotalNumVgprs: 30
; ScratchSize: 0
; MemoryBound: 0
; FloatMode: 240
; IeeeMode: 1
; LDSByteSize: 32768 bytes/workgroup (compile time only)
; SGPRBlocks: 3
; VGPRBlocks: 3
; NumSGPRsForWavesPerEU: 26
; NumVGPRsForWavesPerEU: 30
; AccumOffset: 32
; Occupancy: 8
; WaveLimiterHint : 1
; COMPUTE_PGM_RSRC2:SCRATCH_EN: 0
; COMPUTE_PGM_RSRC2:USER_SGPR: 8
; COMPUTE_PGM_RSRC2:TRAP_HANDLER: 0
; COMPUTE_PGM_RSRC2:TGID_X_EN: 1
; COMPUTE_PGM_RSRC2:TGID_Y_EN: 0
; COMPUTE_PGM_RSRC2:TGID_Z_EN: 0
; COMPUTE_PGM_RSRC2:TIDIG_COMP_CNT: 2
; COMPUTE_PGM_RSRC3_GFX90A:ACCUM_OFFSET: 7
; COMPUTE_PGM_RSRC3_GFX90A:TG_SPLIT: 0
	.section	.text._ZN9rocsparseL12gemvi_kernelILj1024ELj64Ei21rocsparse_complex_numIdEEEvT1_S3_NS_24const_host_device_scalarIT2_EEPKS5_lS3_S8_PKS3_S6_PS5_21rocsparse_index_base_b,"axG",@progbits,_ZN9rocsparseL12gemvi_kernelILj1024ELj64Ei21rocsparse_complex_numIdEEEvT1_S3_NS_24const_host_device_scalarIT2_EEPKS5_lS3_S8_PKS3_S6_PS5_21rocsparse_index_base_b,comdat
	.globl	_ZN9rocsparseL12gemvi_kernelILj1024ELj64Ei21rocsparse_complex_numIdEEEvT1_S3_NS_24const_host_device_scalarIT2_EEPKS5_lS3_S8_PKS3_S6_PS5_21rocsparse_index_base_b ; -- Begin function _ZN9rocsparseL12gemvi_kernelILj1024ELj64Ei21rocsparse_complex_numIdEEEvT1_S3_NS_24const_host_device_scalarIT2_EEPKS5_lS3_S8_PKS3_S6_PS5_21rocsparse_index_base_b
	.p2align	8
	.type	_ZN9rocsparseL12gemvi_kernelILj1024ELj64Ei21rocsparse_complex_numIdEEEvT1_S3_NS_24const_host_device_scalarIT2_EEPKS5_lS3_S8_PKS3_S6_PS5_21rocsparse_index_base_b,@function
_ZN9rocsparseL12gemvi_kernelILj1024ELj64Ei21rocsparse_complex_numIdEEEvT1_S3_NS_24const_host_device_scalarIT2_EEPKS5_lS3_S8_PKS3_S6_PS5_21rocsparse_index_base_b: ; @_ZN9rocsparseL12gemvi_kernelILj1024ELj64Ei21rocsparse_complex_numIdEEEvT1_S3_NS_24const_host_device_scalarIT2_EEPKS5_lS3_S8_PKS3_S6_PS5_21rocsparse_index_base_b
; %bb.0:
	s_load_dwordx2 s[20:21], s[6:7], 0x58
	s_load_dwordx4 s[16:19], s[6:7], 0x8
	s_load_dwordx4 s[12:15], s[6:7], 0x40
	s_mov_b64 s[2:3], src_shared_base
	s_load_dwordx2 s[4:5], s[4:5], 0x4
	s_waitcnt lgkmcnt(0)
	s_bitcmp1_b32 s21, 0
	s_cselect_b64 s[0:1], -1, 0
	s_and_b64 vcc, s[0:1], exec
	s_cselect_b32 s2, s3, s17
	s_lshr_b32 s4, s4, 16
	v_and_b32_e32 v18, 0x3ff, v0
	s_mul_i32 s4, s4, s5
	v_mul_lo_u32 v1, s4, v18
	v_bfe_u32 v2, v0, 10, 10
	v_mad_u32_u24 v1, v2, s5, v1
	v_bfe_u32 v0, v0, 20, 10
	v_add_lshl_u32 v6, v1, v0, 3
	v_mov_b32_e32 v4, s16
	v_add_u32_e32 v5, 0x6000, v6
	v_pk_mov_b32 v[0:1], s[16:17], s[16:17] op_sel:[0,1]
	v_pk_mov_b32 v[2:3], s[12:13], s[12:13] op_sel:[0,1]
	ds_write2st64_b64 v6, v[2:3], v[0:1] offset0:32 offset1:48
	v_cndmask_b32_e64 v0, v4, v5, s[0:1]
	v_mov_b32_e32 v1, s2
	flat_load_dwordx2 v[4:5], v[0:1]
	s_xor_b64 s[4:5], s[0:1], -1
	v_add_u32_e32 v0, 0x4000, v6
	v_pk_mov_b32 v[6:7], s[18:19], s[18:19] op_sel:[0,1]
	s_cbranch_vccnz .LBB7_2
; %bb.1:
	v_pk_mov_b32 v[2:3], s[16:17], s[16:17] op_sel:[0,1]
	flat_load_dwordx2 v[6:7], v[2:3] offset:8
.LBB7_2:
	s_and_b64 s[10:11], s[0:1], exec
	s_cselect_b32 s2, s3, s13
	v_mov_b32_e32 v1, s12
	v_cndmask_b32_e64 v0, v1, v0, s[0:1]
	v_mov_b32_e32 v1, s2
	flat_load_dwordx2 v[8:9], v[0:1]
	s_andn2_b64 vcc, exec, s[4:5]
	v_pk_mov_b32 v[10:11], s[14:15], s[14:15] op_sel:[0,1]
	s_cbranch_vccnz .LBB7_4
; %bb.3:
	v_pk_mov_b32 v[0:1], s[12:13], s[12:13] op_sel:[0,1]
	flat_load_dwordx2 v[10:11], v[0:1] offset:8
.LBB7_4:
	s_waitcnt vmcnt(0) lgkmcnt(0)
	v_cmp_eq_f64_e32 vcc, 0, v[4:5]
	v_cmp_eq_f64_e64 s[0:1], 0, v[6:7]
	s_and_b64 s[4:5], vcc, s[0:1]
	s_mov_b64 s[0:1], -1
	s_and_saveexec_b64 s[2:3], s[4:5]
; %bb.5:
	v_cmp_neq_f64_e32 vcc, 1.0, v[8:9]
	v_cmp_neq_f64_e64 s[0:1], 0, v[10:11]
	s_or_b64 s[0:1], vcc, s[0:1]
	s_orn2_b64 s[0:1], s[0:1], exec
; %bb.6:
	s_or_b64 exec, exec, s[2:3]
	s_and_saveexec_b64 s[2:3], s[0:1]
	s_cbranch_execz .LBB7_26
; %bb.7:
	s_load_dword s2, s[6:7], 0x0
	v_and_b32_e32 v19, 63, v18
	v_pk_mov_b32 v[0:1], 0, 0
	v_lshl_or_b32 v12, s8, 6, v19
	v_pk_mov_b32 v[2:3], v[0:1], v[0:1] op_sel:[0,1]
	s_waitcnt lgkmcnt(0)
	v_cmp_le_i32_e64 s[0:1], s2, v12
	v_cmp_gt_i32_e32 vcc, s2, v12
	s_and_saveexec_b64 s[4:5], vcc
	s_cbranch_execz .LBB7_13
; %bb.8:
	s_load_dword s14, s[6:7], 0x28
	v_lshrrev_b32_e32 v20, 6, v18
	v_pk_mov_b32 v[2:3], 0, 0
	v_pk_mov_b32 v[0:1], v[2:3], v[2:3] op_sel:[0,1]
	s_waitcnt lgkmcnt(0)
	v_cmp_gt_i32_e32 vcc, s14, v20
	s_and_saveexec_b64 s[12:13], vcc
	s_cbranch_execz .LBB7_12
; %bb.9:
	s_load_dwordx4 s[8:11], s[6:7], 0x18
	s_load_dwordx4 s[16:19], s[6:7], 0x30
	v_ashrrev_i32_e32 v13, 31, v12
	v_lshlrev_b64 v[0:1], 4, v[12:13]
	s_waitcnt lgkmcnt(0)
	v_mov_b32_e32 v2, s9
	v_add_co_u32_e32 v13, vcc, s8, v0
	v_lshrrev_b32_e32 v0, 6, v18
	v_addc_co_u32_e32 v21, vcc, v2, v1, vcc
	v_lshlrev_b32_e32 v1, 4, v0
	v_mov_b32_e32 v2, s17
	v_add_co_u32_e32 v1, vcc, s16, v1
	v_addc_co_u32_e32 v2, vcc, 0, v2, vcc
	v_add_co_u32_e32 v14, vcc, 8, v1
	v_addc_co_u32_e32 v15, vcc, 0, v2, vcc
	v_lshlrev_b32_e32 v0, 2, v0
	v_mov_b32_e32 v1, s19
	v_add_co_u32_e32 v16, vcc, s18, v0
	v_pk_mov_b32 v[2:3], 0, 0
	v_addc_co_u32_e32 v17, vcc, 0, v1, vcc
	s_mov_b64 s[8:9], 0
	v_pk_mov_b32 v[0:1], v[2:3], v[2:3] op_sel:[0,1]
.LBB7_10:                               ; =>This Inner Loop Header: Depth=1
	global_load_dword v26, v[16:17], off
	global_load_dwordx4 v[22:25], v[14:15], off offset:-8
	v_add_u32_e32 v20, 16, v20
	s_waitcnt vmcnt(1)
	v_subrev_u32_e32 v26, s20, v26
	v_ashrrev_i32_e32 v28, 31, v26
	v_mul_lo_u32 v29, v26, s11
	v_mad_u64_u32 v[26:27], s[2:3], v26, s10, 0
	v_mul_lo_u32 v28, v28, s10
	v_add3_u32 v27, v27, v29, v28
	v_lshlrev_b64 v[26:27], 4, v[26:27]
	v_add_co_u32_e32 v26, vcc, v13, v26
	v_addc_co_u32_e32 v27, vcc, v21, v27, vcc
	global_load_dwordx4 v[26:29], v[26:27], off
	v_add_co_u32_e32 v14, vcc, 0x100, v14
	v_addc_co_u32_e32 v15, vcc, 0, v15, vcc
	v_add_co_u32_e64 v16, s[2:3], 64, v16
	v_cmp_le_i32_e32 vcc, s14, v20
	v_addc_co_u32_e64 v17, s[2:3], 0, v17, s[2:3]
	s_or_b64 s[8:9], vcc, s[8:9]
	s_waitcnt vmcnt(0)
	v_fmac_f64_e32 v[0:1], v[22:23], v[26:27]
	v_fmac_f64_e32 v[2:3], v[24:25], v[26:27]
	v_fma_f64 v[0:1], -v[24:25], v[28:29], v[0:1]
	v_fmac_f64_e32 v[2:3], v[22:23], v[28:29]
	s_andn2_b64 exec, exec, s[8:9]
	s_cbranch_execnz .LBB7_10
; %bb.11:
	s_or_b64 exec, exec, s[8:9]
.LBB7_12:
	s_or_b64 exec, exec, s[12:13]
.LBB7_13:
	s_or_b64 exec, exec, s[4:5]
	s_movk_i32 s2, 0x200
	v_lshlrev_b32_e32 v13, 4, v18
	v_cmp_gt_u32_e32 vcc, s2, v18
	ds_write_b128 v13, v[0:3]
	s_waitcnt lgkmcnt(0)
	s_barrier
	s_and_saveexec_b64 s[2:3], vcc
	s_cbranch_execz .LBB7_15
; %bb.14:
	ds_read_b128 v[0:3], v13 offset:8192
	ds_read_b128 v[14:17], v13
	s_waitcnt lgkmcnt(0)
	v_add_f64 v[0:1], v[0:1], v[14:15]
	v_add_f64 v[2:3], v[2:3], v[16:17]
	ds_write_b128 v13, v[0:3]
.LBB7_15:
	s_or_b64 exec, exec, s[2:3]
	s_movk_i32 s2, 0x100
	v_cmp_gt_u32_e32 vcc, s2, v18
	s_waitcnt lgkmcnt(0)
	s_barrier
	s_and_saveexec_b64 s[2:3], vcc
	s_cbranch_execz .LBB7_17
; %bb.16:
	ds_read_b128 v[0:3], v13 offset:4096
	ds_read_b128 v[14:17], v13
	s_waitcnt lgkmcnt(0)
	v_add_f64 v[0:1], v[0:1], v[14:15]
	v_add_f64 v[2:3], v[2:3], v[16:17]
	ds_write_b128 v13, v[0:3]
.LBB7_17:
	s_or_b64 exec, exec, s[2:3]
	s_movk_i32 s2, 0x80
	v_cmp_gt_u32_e32 vcc, s2, v18
	s_waitcnt lgkmcnt(0)
	s_barrier
	s_and_saveexec_b64 s[2:3], vcc
	s_cbranch_execz .LBB7_19
; %bb.18:
	ds_read_b128 v[0:3], v13 offset:2048
	ds_read_b128 v[14:17], v13
	s_waitcnt lgkmcnt(0)
	v_add_f64 v[0:1], v[0:1], v[14:15]
	v_add_f64 v[2:3], v[2:3], v[16:17]
	ds_write_b128 v13, v[0:3]
.LBB7_19:
	s_or_b64 exec, exec, s[2:3]
	v_cmp_lt_u32_e32 vcc, 63, v18
	v_cmp_gt_u32_e64 s[2:3], 64, v18
	s_waitcnt lgkmcnt(0)
	s_barrier
	s_and_saveexec_b64 s[4:5], s[2:3]
	s_cbranch_execz .LBB7_21
; %bb.20:
	ds_read_b128 v[0:3], v13 offset:1024
	ds_read_b128 v[14:17], v13
	s_waitcnt lgkmcnt(0)
	v_add_f64 v[0:1], v[0:1], v[14:15]
	v_add_f64 v[2:3], v[2:3], v[16:17]
	ds_write_b128 v13, v[0:3]
.LBB7_21:
	s_or_b64 exec, exec, s[4:5]
	s_or_b64 s[0:1], vcc, s[0:1]
	s_xor_b64 s[0:1], s[0:1], -1
	s_and_b64 exec, exec, s[0:1]
	s_cbranch_execz .LBB7_26
; %bb.22:
	v_lshlrev_b32_e32 v0, 4, v19
	s_load_dwordx2 s[2:3], s[6:7], 0x50
	ds_read_b128 v[0:3], v0
	v_cmp_eq_f64_e32 vcc, 0, v[8:9]
	v_cmp_eq_f64_e64 s[0:1], 0, v[10:11]
	s_and_b64 s[0:1], vcc, s[0:1]
	v_ashrrev_i32_e32 v13, 31, v12
	s_and_saveexec_b64 s[4:5], s[0:1]
	s_xor_b64 s[0:1], exec, s[4:5]
	s_cbranch_execz .LBB7_24
; %bb.23:
	s_waitcnt lgkmcnt(0)
	v_mul_f64 v[8:9], v[2:3], -v[6:7]
	v_mul_f64 v[10:11], v[4:5], v[2:3]
	v_fmac_f64_e32 v[8:9], v[4:5], v[0:1]
	v_fmac_f64_e32 v[10:11], v[6:7], v[0:1]
	v_lshlrev_b64 v[0:1], 4, v[12:13]
	v_mov_b32_e32 v2, s3
	v_add_co_u32_e32 v0, vcc, s2, v0
	v_addc_co_u32_e32 v1, vcc, v2, v1, vcc
	global_store_dwordx4 v[0:1], v[8:11], off
                                        ; implicit-def: $vgpr12
                                        ; implicit-def: $vgpr10_vgpr11
                                        ; implicit-def: $vgpr8_vgpr9
                                        ; implicit-def: $vgpr4_vgpr5
                                        ; implicit-def: $vgpr0_vgpr1
                                        ; implicit-def: $vgpr6_vgpr7
.LBB7_24:
	s_andn2_saveexec_b64 s[0:1], s[0:1]
	s_cbranch_execz .LBB7_26
; %bb.25:
	v_lshlrev_b64 v[12:13], 4, v[12:13]
	s_waitcnt lgkmcnt(0)
	v_mov_b32_e32 v14, s3
	v_add_co_u32_e32 v16, vcc, s2, v12
	v_addc_co_u32_e32 v17, vcc, v14, v13, vcc
	global_load_dwordx4 v[12:15], v[16:17], off
	s_waitcnt vmcnt(0)
	v_mul_f64 v[18:19], v[14:15], -v[10:11]
	v_mul_f64 v[14:15], v[8:9], v[14:15]
	v_fmac_f64_e32 v[18:19], v[8:9], v[12:13]
	v_fmac_f64_e32 v[14:15], v[10:11], v[12:13]
	;; [unrolled: 1-line block ×4, first 2 shown]
	v_fma_f64 v[12:13], -v[6:7], v[2:3], v[18:19]
	v_fmac_f64_e32 v[14:15], v[4:5], v[2:3]
	global_store_dwordx4 v[16:17], v[12:15], off
.LBB7_26:
	s_endpgm
	.section	.rodata,"a",@progbits
	.p2align	6, 0x0
	.amdhsa_kernel _ZN9rocsparseL12gemvi_kernelILj1024ELj64Ei21rocsparse_complex_numIdEEEvT1_S3_NS_24const_host_device_scalarIT2_EEPKS5_lS3_S8_PKS3_S6_PS5_21rocsparse_index_base_b
		.amdhsa_group_segment_fixed_size 32768
		.amdhsa_private_segment_fixed_size 0
		.amdhsa_kernarg_size 96
		.amdhsa_user_sgpr_count 8
		.amdhsa_user_sgpr_private_segment_buffer 1
		.amdhsa_user_sgpr_dispatch_ptr 1
		.amdhsa_user_sgpr_queue_ptr 0
		.amdhsa_user_sgpr_kernarg_segment_ptr 1
		.amdhsa_user_sgpr_dispatch_id 0
		.amdhsa_user_sgpr_flat_scratch_init 0
		.amdhsa_user_sgpr_kernarg_preload_length 0
		.amdhsa_user_sgpr_kernarg_preload_offset 0
		.amdhsa_user_sgpr_private_segment_size 0
		.amdhsa_uses_dynamic_stack 0
		.amdhsa_system_sgpr_private_segment_wavefront_offset 0
		.amdhsa_system_sgpr_workgroup_id_x 1
		.amdhsa_system_sgpr_workgroup_id_y 0
		.amdhsa_system_sgpr_workgroup_id_z 0
		.amdhsa_system_sgpr_workgroup_info 0
		.amdhsa_system_vgpr_workitem_id 2
		.amdhsa_next_free_vgpr 30
		.amdhsa_next_free_sgpr 22
		.amdhsa_accum_offset 32
		.amdhsa_reserve_vcc 1
		.amdhsa_reserve_flat_scratch 0
		.amdhsa_float_round_mode_32 0
		.amdhsa_float_round_mode_16_64 0
		.amdhsa_float_denorm_mode_32 3
		.amdhsa_float_denorm_mode_16_64 3
		.amdhsa_dx10_clamp 1
		.amdhsa_ieee_mode 1
		.amdhsa_fp16_overflow 0
		.amdhsa_tg_split 0
		.amdhsa_exception_fp_ieee_invalid_op 0
		.amdhsa_exception_fp_denorm_src 0
		.amdhsa_exception_fp_ieee_div_zero 0
		.amdhsa_exception_fp_ieee_overflow 0
		.amdhsa_exception_fp_ieee_underflow 0
		.amdhsa_exception_fp_ieee_inexact 0
		.amdhsa_exception_int_div_zero 0
	.end_amdhsa_kernel
	.section	.text._ZN9rocsparseL12gemvi_kernelILj1024ELj64Ei21rocsparse_complex_numIdEEEvT1_S3_NS_24const_host_device_scalarIT2_EEPKS5_lS3_S8_PKS3_S6_PS5_21rocsparse_index_base_b,"axG",@progbits,_ZN9rocsparseL12gemvi_kernelILj1024ELj64Ei21rocsparse_complex_numIdEEEvT1_S3_NS_24const_host_device_scalarIT2_EEPKS5_lS3_S8_PKS3_S6_PS5_21rocsparse_index_base_b,comdat
.Lfunc_end7:
	.size	_ZN9rocsparseL12gemvi_kernelILj1024ELj64Ei21rocsparse_complex_numIdEEEvT1_S3_NS_24const_host_device_scalarIT2_EEPKS5_lS3_S8_PKS3_S6_PS5_21rocsparse_index_base_b, .Lfunc_end7-_ZN9rocsparseL12gemvi_kernelILj1024ELj64Ei21rocsparse_complex_numIdEEEvT1_S3_NS_24const_host_device_scalarIT2_EEPKS5_lS3_S8_PKS3_S6_PS5_21rocsparse_index_base_b
                                        ; -- End function
	.section	.AMDGPU.csdata,"",@progbits
; Kernel info:
; codeLenInByte = 1240
; NumSgprs: 26
; NumVgprs: 30
; NumAgprs: 0
; TotalNumVgprs: 30
; ScratchSize: 0
; MemoryBound: 0
; FloatMode: 240
; IeeeMode: 1
; LDSByteSize: 32768 bytes/workgroup (compile time only)
; SGPRBlocks: 3
; VGPRBlocks: 3
; NumSGPRsForWavesPerEU: 26
; NumVGPRsForWavesPerEU: 30
; AccumOffset: 32
; Occupancy: 8
; WaveLimiterHint : 1
; COMPUTE_PGM_RSRC2:SCRATCH_EN: 0
; COMPUTE_PGM_RSRC2:USER_SGPR: 8
; COMPUTE_PGM_RSRC2:TRAP_HANDLER: 0
; COMPUTE_PGM_RSRC2:TGID_X_EN: 1
; COMPUTE_PGM_RSRC2:TGID_Y_EN: 0
; COMPUTE_PGM_RSRC2:TGID_Z_EN: 0
; COMPUTE_PGM_RSRC2:TIDIG_COMP_CNT: 2
; COMPUTE_PGM_RSRC3_GFX90A:ACCUM_OFFSET: 7
; COMPUTE_PGM_RSRC3_GFX90A:TG_SPLIT: 0
	.text
	.p2alignl 6, 3212836864
	.fill 256, 4, 3212836864
	.type	__hip_cuid_dc04b06809cbc5e6,@object ; @__hip_cuid_dc04b06809cbc5e6
	.section	.bss,"aw",@nobits
	.globl	__hip_cuid_dc04b06809cbc5e6
__hip_cuid_dc04b06809cbc5e6:
	.byte	0                               ; 0x0
	.size	__hip_cuid_dc04b06809cbc5e6, 1

	.ident	"AMD clang version 19.0.0git (https://github.com/RadeonOpenCompute/llvm-project roc-6.4.0 25133 c7fe45cf4b819c5991fe208aaa96edf142730f1d)"
	.section	".note.GNU-stack","",@progbits
	.addrsig
	.addrsig_sym __hip_cuid_dc04b06809cbc5e6
	.amdgpu_metadata
---
amdhsa.kernels:
  - .agpr_count:     0
    .args:
      - .offset:         0
        .size:           4
        .value_kind:     by_value
      - .offset:         4
        .size:           4
        .value_kind:     by_value
      - .offset:         8
        .size:           8
        .value_kind:     by_value
      - .actual_access:  read_only
        .address_space:  global
        .offset:         16
        .size:           8
        .value_kind:     global_buffer
      - .offset:         24
        .size:           8
        .value_kind:     by_value
      - .offset:         32
        .size:           4
        .value_kind:     by_value
      - .actual_access:  read_only
        .address_space:  global
        .offset:         40
        .size:           8
        .value_kind:     global_buffer
      - .actual_access:  read_only
        .address_space:  global
        .offset:         48
        .size:           8
        .value_kind:     global_buffer
      - .offset:         56
        .size:           8
        .value_kind:     by_value
      - .address_space:  global
        .offset:         64
        .size:           8
        .value_kind:     global_buffer
      - .offset:         72
        .size:           4
        .value_kind:     by_value
      - .offset:         76
        .size:           1
        .value_kind:     by_value
    .group_segment_fixed_size: 4096
    .kernarg_segment_align: 8
    .kernarg_segment_size: 80
    .language:       OpenCL C
    .language_version:
      - 2
      - 0
    .max_flat_workgroup_size: 1024
    .name:           _ZN9rocsparseL12gemvi_kernelILj1024ELj32EifEEvT1_S1_NS_24const_host_device_scalarIT2_EEPKS3_lS1_S6_PKS1_S4_PS3_21rocsparse_index_base_b
    .private_segment_fixed_size: 0
    .sgpr_count:     28
    .sgpr_spill_count: 0
    .symbol:         _ZN9rocsparseL12gemvi_kernelILj1024ELj32EifEEvT1_S1_NS_24const_host_device_scalarIT2_EEPKS3_lS1_S6_PKS1_S4_PS3_21rocsparse_index_base_b.kd
    .uniform_work_group_size: 1
    .uses_dynamic_stack: false
    .vgpr_count:     17
    .vgpr_spill_count: 0
    .wavefront_size: 64
  - .agpr_count:     0
    .args:
      - .offset:         0
        .size:           4
        .value_kind:     by_value
      - .offset:         4
        .size:           4
        .value_kind:     by_value
      - .offset:         8
        .size:           8
        .value_kind:     by_value
      - .actual_access:  read_only
        .address_space:  global
        .offset:         16
        .size:           8
        .value_kind:     global_buffer
      - .offset:         24
        .size:           8
        .value_kind:     by_value
      - .offset:         32
        .size:           4
        .value_kind:     by_value
      - .actual_access:  read_only
        .address_space:  global
        .offset:         40
        .size:           8
        .value_kind:     global_buffer
      - .actual_access:  read_only
        .address_space:  global
        .offset:         48
        .size:           8
        .value_kind:     global_buffer
      - .offset:         56
        .size:           8
        .value_kind:     by_value
      - .address_space:  global
        .offset:         64
        .size:           8
        .value_kind:     global_buffer
      - .offset:         72
        .size:           4
        .value_kind:     by_value
      - .offset:         76
        .size:           1
        .value_kind:     by_value
    .group_segment_fixed_size: 4096
    .kernarg_segment_align: 8
    .kernarg_segment_size: 80
    .language:       OpenCL C
    .language_version:
      - 2
      - 0
    .max_flat_workgroup_size: 1024
    .name:           _ZN9rocsparseL12gemvi_kernelILj1024ELj64EifEEvT1_S1_NS_24const_host_device_scalarIT2_EEPKS3_lS1_S6_PKS1_S4_PS3_21rocsparse_index_base_b
    .private_segment_fixed_size: 0
    .sgpr_count:     24
    .sgpr_spill_count: 0
    .symbol:         _ZN9rocsparseL12gemvi_kernelILj1024ELj64EifEEvT1_S1_NS_24const_host_device_scalarIT2_EEPKS3_lS1_S6_PKS1_S4_PS3_21rocsparse_index_base_b.kd
    .uniform_work_group_size: 1
    .uses_dynamic_stack: false
    .vgpr_count:     17
    .vgpr_spill_count: 0
    .wavefront_size: 64
  - .agpr_count:     0
    .args:
      - .offset:         0
        .size:           4
        .value_kind:     by_value
      - .offset:         4
        .size:           4
        .value_kind:     by_value
      - .offset:         8
        .size:           8
        .value_kind:     by_value
      - .actual_access:  read_only
        .address_space:  global
        .offset:         16
        .size:           8
        .value_kind:     global_buffer
      - .offset:         24
        .size:           8
        .value_kind:     by_value
      - .offset:         32
        .size:           4
        .value_kind:     by_value
      - .actual_access:  read_only
        .address_space:  global
        .offset:         40
        .size:           8
        .value_kind:     global_buffer
      - .actual_access:  read_only
        .address_space:  global
        .offset:         48
        .size:           8
        .value_kind:     global_buffer
      - .offset:         56
        .size:           8
        .value_kind:     by_value
      - .address_space:  global
        .offset:         64
        .size:           8
        .value_kind:     global_buffer
      - .offset:         72
        .size:           4
        .value_kind:     by_value
      - .offset:         76
        .size:           1
        .value_kind:     by_value
    .group_segment_fixed_size: 8192
    .kernarg_segment_align: 8
    .kernarg_segment_size: 80
    .language:       OpenCL C
    .language_version:
      - 2
      - 0
    .max_flat_workgroup_size: 1024
    .name:           _ZN9rocsparseL12gemvi_kernelILj1024ELj32EidEEvT1_S1_NS_24const_host_device_scalarIT2_EEPKS3_lS1_S6_PKS1_S4_PS3_21rocsparse_index_base_b
    .private_segment_fixed_size: 0
    .sgpr_count:     24
    .sgpr_spill_count: 0
    .symbol:         _ZN9rocsparseL12gemvi_kernelILj1024ELj32EidEEvT1_S1_NS_24const_host_device_scalarIT2_EEPKS3_lS1_S6_PKS1_S4_PS3_21rocsparse_index_base_b.kd
    .uniform_work_group_size: 1
    .uses_dynamic_stack: false
    .vgpr_count:     22
    .vgpr_spill_count: 0
    .wavefront_size: 64
  - .agpr_count:     0
    .args:
      - .offset:         0
        .size:           4
        .value_kind:     by_value
      - .offset:         4
        .size:           4
        .value_kind:     by_value
      - .offset:         8
        .size:           8
        .value_kind:     by_value
      - .actual_access:  read_only
        .address_space:  global
        .offset:         16
        .size:           8
        .value_kind:     global_buffer
      - .offset:         24
        .size:           8
        .value_kind:     by_value
      - .offset:         32
        .size:           4
        .value_kind:     by_value
      - .actual_access:  read_only
        .address_space:  global
        .offset:         40
        .size:           8
        .value_kind:     global_buffer
      - .actual_access:  read_only
        .address_space:  global
        .offset:         48
        .size:           8
        .value_kind:     global_buffer
      - .offset:         56
        .size:           8
        .value_kind:     by_value
      - .address_space:  global
        .offset:         64
        .size:           8
        .value_kind:     global_buffer
      - .offset:         72
        .size:           4
        .value_kind:     by_value
      - .offset:         76
        .size:           1
        .value_kind:     by_value
    .group_segment_fixed_size: 8192
    .kernarg_segment_align: 8
    .kernarg_segment_size: 80
    .language:       OpenCL C
    .language_version:
      - 2
      - 0
    .max_flat_workgroup_size: 1024
    .name:           _ZN9rocsparseL12gemvi_kernelILj1024ELj64EidEEvT1_S1_NS_24const_host_device_scalarIT2_EEPKS3_lS1_S6_PKS1_S4_PS3_21rocsparse_index_base_b
    .private_segment_fixed_size: 0
    .sgpr_count:     24
    .sgpr_spill_count: 0
    .symbol:         _ZN9rocsparseL12gemvi_kernelILj1024ELj64EidEEvT1_S1_NS_24const_host_device_scalarIT2_EEPKS3_lS1_S6_PKS1_S4_PS3_21rocsparse_index_base_b.kd
    .uniform_work_group_size: 1
    .uses_dynamic_stack: false
    .vgpr_count:     22
    .vgpr_spill_count: 0
    .wavefront_size: 64
  - .agpr_count:     0
    .args:
      - .offset:         0
        .size:           4
        .value_kind:     by_value
      - .offset:         4
        .size:           4
        .value_kind:     by_value
      - .offset:         8
        .size:           8
        .value_kind:     by_value
      - .actual_access:  read_only
        .address_space:  global
        .offset:         16
        .size:           8
        .value_kind:     global_buffer
      - .offset:         24
        .size:           8
        .value_kind:     by_value
      - .offset:         32
        .size:           4
        .value_kind:     by_value
      - .actual_access:  read_only
        .address_space:  global
        .offset:         40
        .size:           8
        .value_kind:     global_buffer
      - .actual_access:  read_only
        .address_space:  global
        .offset:         48
        .size:           8
        .value_kind:     global_buffer
      - .offset:         56
        .size:           8
        .value_kind:     by_value
      - .address_space:  global
        .offset:         64
        .size:           8
        .value_kind:     global_buffer
      - .offset:         72
        .size:           4
        .value_kind:     by_value
      - .offset:         76
        .size:           1
        .value_kind:     by_value
    .group_segment_fixed_size: 8192
    .kernarg_segment_align: 8
    .kernarg_segment_size: 80
    .language:       OpenCL C
    .language_version:
      - 2
      - 0
    .max_flat_workgroup_size: 1024
    .name:           _ZN9rocsparseL12gemvi_kernelILj1024ELj32Ei21rocsparse_complex_numIfEEEvT1_S3_NS_24const_host_device_scalarIT2_EEPKS5_lS3_S8_PKS3_S6_PS5_21rocsparse_index_base_b
    .private_segment_fixed_size: 0
    .sgpr_count:     24
    .sgpr_spill_count: 0
    .symbol:         _ZN9rocsparseL12gemvi_kernelILj1024ELj32Ei21rocsparse_complex_numIfEEEvT1_S3_NS_24const_host_device_scalarIT2_EEPKS5_lS3_S8_PKS3_S6_PS5_21rocsparse_index_base_b.kd
    .uniform_work_group_size: 1
    .uses_dynamic_stack: false
    .vgpr_count:     22
    .vgpr_spill_count: 0
    .wavefront_size: 64
  - .agpr_count:     0
    .args:
      - .offset:         0
        .size:           4
        .value_kind:     by_value
      - .offset:         4
        .size:           4
        .value_kind:     by_value
      - .offset:         8
        .size:           8
        .value_kind:     by_value
      - .actual_access:  read_only
        .address_space:  global
        .offset:         16
        .size:           8
        .value_kind:     global_buffer
      - .offset:         24
        .size:           8
        .value_kind:     by_value
      - .offset:         32
        .size:           4
        .value_kind:     by_value
      - .actual_access:  read_only
        .address_space:  global
        .offset:         40
        .size:           8
        .value_kind:     global_buffer
      - .actual_access:  read_only
        .address_space:  global
        .offset:         48
        .size:           8
        .value_kind:     global_buffer
      - .offset:         56
        .size:           8
        .value_kind:     by_value
      - .address_space:  global
        .offset:         64
        .size:           8
        .value_kind:     global_buffer
      - .offset:         72
        .size:           4
        .value_kind:     by_value
      - .offset:         76
        .size:           1
        .value_kind:     by_value
    .group_segment_fixed_size: 8192
    .kernarg_segment_align: 8
    .kernarg_segment_size: 80
    .language:       OpenCL C
    .language_version:
      - 2
      - 0
    .max_flat_workgroup_size: 1024
    .name:           _ZN9rocsparseL12gemvi_kernelILj1024ELj64Ei21rocsparse_complex_numIfEEEvT1_S3_NS_24const_host_device_scalarIT2_EEPKS5_lS3_S8_PKS3_S6_PS5_21rocsparse_index_base_b
    .private_segment_fixed_size: 0
    .sgpr_count:     24
    .sgpr_spill_count: 0
    .symbol:         _ZN9rocsparseL12gemvi_kernelILj1024ELj64Ei21rocsparse_complex_numIfEEEvT1_S3_NS_24const_host_device_scalarIT2_EEPKS5_lS3_S8_PKS3_S6_PS5_21rocsparse_index_base_b.kd
    .uniform_work_group_size: 1
    .uses_dynamic_stack: false
    .vgpr_count:     22
    .vgpr_spill_count: 0
    .wavefront_size: 64
  - .agpr_count:     0
    .args:
      - .offset:         0
        .size:           4
        .value_kind:     by_value
      - .offset:         4
        .size:           4
        .value_kind:     by_value
      - .offset:         8
        .size:           16
        .value_kind:     by_value
      - .actual_access:  read_only
        .address_space:  global
        .offset:         24
        .size:           8
        .value_kind:     global_buffer
      - .offset:         32
        .size:           8
        .value_kind:     by_value
      - .offset:         40
        .size:           4
        .value_kind:     by_value
      - .actual_access:  read_only
        .address_space:  global
        .offset:         48
        .size:           8
        .value_kind:     global_buffer
      - .actual_access:  read_only
        .address_space:  global
        .offset:         56
        .size:           8
        .value_kind:     global_buffer
      - .offset:         64
        .size:           16
        .value_kind:     by_value
      - .address_space:  global
        .offset:         80
        .size:           8
        .value_kind:     global_buffer
      - .offset:         88
        .size:           4
        .value_kind:     by_value
      - .offset:         92
        .size:           1
        .value_kind:     by_value
    .group_segment_fixed_size: 32768
    .kernarg_segment_align: 8
    .kernarg_segment_size: 96
    .language:       OpenCL C
    .language_version:
      - 2
      - 0
    .max_flat_workgroup_size: 1024
    .name:           _ZN9rocsparseL12gemvi_kernelILj1024ELj32Ei21rocsparse_complex_numIdEEEvT1_S3_NS_24const_host_device_scalarIT2_EEPKS5_lS3_S8_PKS3_S6_PS5_21rocsparse_index_base_b
    .private_segment_fixed_size: 0
    .sgpr_count:     26
    .sgpr_spill_count: 0
    .symbol:         _ZN9rocsparseL12gemvi_kernelILj1024ELj32Ei21rocsparse_complex_numIdEEEvT1_S3_NS_24const_host_device_scalarIT2_EEPKS5_lS3_S8_PKS3_S6_PS5_21rocsparse_index_base_b.kd
    .uniform_work_group_size: 1
    .uses_dynamic_stack: false
    .vgpr_count:     30
    .vgpr_spill_count: 0
    .wavefront_size: 64
  - .agpr_count:     0
    .args:
      - .offset:         0
        .size:           4
        .value_kind:     by_value
      - .offset:         4
        .size:           4
        .value_kind:     by_value
      - .offset:         8
        .size:           16
        .value_kind:     by_value
      - .actual_access:  read_only
        .address_space:  global
        .offset:         24
        .size:           8
        .value_kind:     global_buffer
      - .offset:         32
        .size:           8
        .value_kind:     by_value
      - .offset:         40
        .size:           4
        .value_kind:     by_value
      - .actual_access:  read_only
        .address_space:  global
        .offset:         48
        .size:           8
        .value_kind:     global_buffer
      - .actual_access:  read_only
        .address_space:  global
        .offset:         56
        .size:           8
        .value_kind:     global_buffer
      - .offset:         64
        .size:           16
        .value_kind:     by_value
      - .address_space:  global
        .offset:         80
        .size:           8
        .value_kind:     global_buffer
      - .offset:         88
        .size:           4
        .value_kind:     by_value
      - .offset:         92
        .size:           1
        .value_kind:     by_value
    .group_segment_fixed_size: 32768
    .kernarg_segment_align: 8
    .kernarg_segment_size: 96
    .language:       OpenCL C
    .language_version:
      - 2
      - 0
    .max_flat_workgroup_size: 1024
    .name:           _ZN9rocsparseL12gemvi_kernelILj1024ELj64Ei21rocsparse_complex_numIdEEEvT1_S3_NS_24const_host_device_scalarIT2_EEPKS5_lS3_S8_PKS3_S6_PS5_21rocsparse_index_base_b
    .private_segment_fixed_size: 0
    .sgpr_count:     26
    .sgpr_spill_count: 0
    .symbol:         _ZN9rocsparseL12gemvi_kernelILj1024ELj64Ei21rocsparse_complex_numIdEEEvT1_S3_NS_24const_host_device_scalarIT2_EEPKS5_lS3_S8_PKS3_S6_PS5_21rocsparse_index_base_b.kd
    .uniform_work_group_size: 1
    .uses_dynamic_stack: false
    .vgpr_count:     30
    .vgpr_spill_count: 0
    .wavefront_size: 64
amdhsa.target:   amdgcn-amd-amdhsa--gfx90a
amdhsa.version:
  - 1
  - 2
...

	.end_amdgpu_metadata
